;; amdgpu-corpus repo=ROCm/rocFFT kind=compiled arch=gfx906 opt=O3
	.text
	.amdgcn_target "amdgcn-amd-amdhsa--gfx906"
	.amdhsa_code_object_version 6
	.protected	fft_rtc_fwd_len4050_factors_10_5_3_3_3_3_wgs_135_tpt_135_halfLds_half_ip_CI_unitstride_sbrr_R2C_dirReg ; -- Begin function fft_rtc_fwd_len4050_factors_10_5_3_3_3_3_wgs_135_tpt_135_halfLds_half_ip_CI_unitstride_sbrr_R2C_dirReg
	.globl	fft_rtc_fwd_len4050_factors_10_5_3_3_3_3_wgs_135_tpt_135_halfLds_half_ip_CI_unitstride_sbrr_R2C_dirReg
	.p2align	8
	.type	fft_rtc_fwd_len4050_factors_10_5_3_3_3_3_wgs_135_tpt_135_halfLds_half_ip_CI_unitstride_sbrr_R2C_dirReg,@function
fft_rtc_fwd_len4050_factors_10_5_3_3_3_3_wgs_135_tpt_135_halfLds_half_ip_CI_unitstride_sbrr_R2C_dirReg: ; @fft_rtc_fwd_len4050_factors_10_5_3_3_3_3_wgs_135_tpt_135_halfLds_half_ip_CI_unitstride_sbrr_R2C_dirReg
; %bb.0:
	s_load_dwordx2 s[2:3], s[4:5], 0x50
	s_load_dwordx4 s[8:11], s[4:5], 0x0
	s_load_dwordx2 s[12:13], s[4:5], 0x18
	v_mul_u32_u24_e32 v1, 0x1e6, v0
	v_add_u32_sdwa v5, s6, v1 dst_sel:DWORD dst_unused:UNUSED_PAD src0_sel:DWORD src1_sel:WORD_1
	v_mov_b32_e32 v3, 0
	s_waitcnt lgkmcnt(0)
	v_cmp_lt_u64_e64 s[0:1], s[10:11], 2
	v_mov_b32_e32 v1, 0
	v_mov_b32_e32 v6, v3
	s_and_b64 vcc, exec, s[0:1]
	v_mov_b32_e32 v2, 0
	s_cbranch_vccnz .LBB0_8
; %bb.1:
	s_load_dwordx2 s[0:1], s[4:5], 0x10
	s_add_u32 s6, s12, 8
	s_addc_u32 s7, s13, 0
	v_mov_b32_e32 v1, 0
	v_mov_b32_e32 v2, 0
	s_waitcnt lgkmcnt(0)
	s_add_u32 s14, s0, 8
	s_addc_u32 s15, s1, 0
	s_mov_b64 s[16:17], 1
.LBB0_2:                                ; =>This Inner Loop Header: Depth=1
	s_load_dwordx2 s[18:19], s[14:15], 0x0
                                        ; implicit-def: $vgpr7_vgpr8
	s_waitcnt lgkmcnt(0)
	v_or_b32_e32 v4, s19, v6
	v_cmp_ne_u64_e32 vcc, 0, v[3:4]
	s_and_saveexec_b64 s[0:1], vcc
	s_xor_b64 s[20:21], exec, s[0:1]
	s_cbranch_execz .LBB0_4
; %bb.3:                                ;   in Loop: Header=BB0_2 Depth=1
	v_cvt_f32_u32_e32 v4, s18
	v_cvt_f32_u32_e32 v7, s19
	s_sub_u32 s0, 0, s18
	s_subb_u32 s1, 0, s19
	v_mac_f32_e32 v4, 0x4f800000, v7
	v_rcp_f32_e32 v4, v4
	v_mul_f32_e32 v4, 0x5f7ffffc, v4
	v_mul_f32_e32 v7, 0x2f800000, v4
	v_trunc_f32_e32 v7, v7
	v_mac_f32_e32 v4, 0xcf800000, v7
	v_cvt_u32_f32_e32 v7, v7
	v_cvt_u32_f32_e32 v4, v4
	v_mul_lo_u32 v8, s0, v7
	v_mul_hi_u32 v9, s0, v4
	v_mul_lo_u32 v11, s1, v4
	v_mul_lo_u32 v10, s0, v4
	v_add_u32_e32 v8, v9, v8
	v_add_u32_e32 v8, v8, v11
	v_mul_hi_u32 v9, v4, v10
	v_mul_lo_u32 v11, v4, v8
	v_mul_hi_u32 v13, v4, v8
	v_mul_hi_u32 v12, v7, v10
	v_mul_lo_u32 v10, v7, v10
	v_mul_hi_u32 v14, v7, v8
	v_add_co_u32_e32 v9, vcc, v9, v11
	v_addc_co_u32_e32 v11, vcc, 0, v13, vcc
	v_mul_lo_u32 v8, v7, v8
	v_add_co_u32_e32 v9, vcc, v9, v10
	v_addc_co_u32_e32 v9, vcc, v11, v12, vcc
	v_addc_co_u32_e32 v10, vcc, 0, v14, vcc
	v_add_co_u32_e32 v8, vcc, v9, v8
	v_addc_co_u32_e32 v9, vcc, 0, v10, vcc
	v_add_co_u32_e32 v4, vcc, v4, v8
	v_addc_co_u32_e32 v7, vcc, v7, v9, vcc
	v_mul_lo_u32 v8, s0, v7
	v_mul_hi_u32 v9, s0, v4
	v_mul_lo_u32 v10, s1, v4
	v_mul_lo_u32 v11, s0, v4
	v_add_u32_e32 v8, v9, v8
	v_add_u32_e32 v8, v8, v10
	v_mul_lo_u32 v12, v4, v8
	v_mul_hi_u32 v13, v4, v11
	v_mul_hi_u32 v14, v4, v8
	;; [unrolled: 1-line block ×3, first 2 shown]
	v_mul_lo_u32 v11, v7, v11
	v_mul_hi_u32 v9, v7, v8
	v_add_co_u32_e32 v12, vcc, v13, v12
	v_addc_co_u32_e32 v13, vcc, 0, v14, vcc
	v_mul_lo_u32 v8, v7, v8
	v_add_co_u32_e32 v11, vcc, v12, v11
	v_addc_co_u32_e32 v10, vcc, v13, v10, vcc
	v_addc_co_u32_e32 v9, vcc, 0, v9, vcc
	v_add_co_u32_e32 v8, vcc, v10, v8
	v_addc_co_u32_e32 v9, vcc, 0, v9, vcc
	v_add_co_u32_e32 v4, vcc, v4, v8
	v_addc_co_u32_e32 v9, vcc, v7, v9, vcc
	v_mad_u64_u32 v[7:8], s[0:1], v5, v9, 0
	v_mul_hi_u32 v10, v5, v4
	v_add_co_u32_e32 v11, vcc, v10, v7
	v_addc_co_u32_e32 v12, vcc, 0, v8, vcc
	v_mad_u64_u32 v[7:8], s[0:1], v6, v4, 0
	v_mad_u64_u32 v[9:10], s[0:1], v6, v9, 0
	v_add_co_u32_e32 v4, vcc, v11, v7
	v_addc_co_u32_e32 v4, vcc, v12, v8, vcc
	v_addc_co_u32_e32 v7, vcc, 0, v10, vcc
	v_add_co_u32_e32 v4, vcc, v4, v9
	v_addc_co_u32_e32 v9, vcc, 0, v7, vcc
	v_mul_lo_u32 v10, s19, v4
	v_mul_lo_u32 v11, s18, v9
	v_mad_u64_u32 v[7:8], s[0:1], s18, v4, 0
	v_add3_u32 v8, v8, v11, v10
	v_sub_u32_e32 v10, v6, v8
	v_mov_b32_e32 v11, s19
	v_sub_co_u32_e32 v7, vcc, v5, v7
	v_subb_co_u32_e64 v10, s[0:1], v10, v11, vcc
	v_subrev_co_u32_e64 v11, s[0:1], s18, v7
	v_subbrev_co_u32_e64 v10, s[0:1], 0, v10, s[0:1]
	v_cmp_le_u32_e64 s[0:1], s19, v10
	v_cndmask_b32_e64 v12, 0, -1, s[0:1]
	v_cmp_le_u32_e64 s[0:1], s18, v11
	v_cndmask_b32_e64 v11, 0, -1, s[0:1]
	v_cmp_eq_u32_e64 s[0:1], s19, v10
	v_cndmask_b32_e64 v10, v12, v11, s[0:1]
	v_add_co_u32_e64 v11, s[0:1], 2, v4
	v_addc_co_u32_e64 v12, s[0:1], 0, v9, s[0:1]
	v_add_co_u32_e64 v13, s[0:1], 1, v4
	v_addc_co_u32_e64 v14, s[0:1], 0, v9, s[0:1]
	v_subb_co_u32_e32 v8, vcc, v6, v8, vcc
	v_cmp_ne_u32_e64 s[0:1], 0, v10
	v_cmp_le_u32_e32 vcc, s19, v8
	v_cndmask_b32_e64 v10, v14, v12, s[0:1]
	v_cndmask_b32_e64 v12, 0, -1, vcc
	v_cmp_le_u32_e32 vcc, s18, v7
	v_cndmask_b32_e64 v7, 0, -1, vcc
	v_cmp_eq_u32_e32 vcc, s19, v8
	v_cndmask_b32_e32 v7, v12, v7, vcc
	v_cmp_ne_u32_e32 vcc, 0, v7
	v_cndmask_b32_e64 v7, v13, v11, s[0:1]
	v_cndmask_b32_e32 v8, v9, v10, vcc
	v_cndmask_b32_e32 v7, v4, v7, vcc
.LBB0_4:                                ;   in Loop: Header=BB0_2 Depth=1
	s_andn2_saveexec_b64 s[0:1], s[20:21]
	s_cbranch_execz .LBB0_6
; %bb.5:                                ;   in Loop: Header=BB0_2 Depth=1
	v_cvt_f32_u32_e32 v4, s18
	s_sub_i32 s20, 0, s18
	v_rcp_iflag_f32_e32 v4, v4
	v_mul_f32_e32 v4, 0x4f7ffffe, v4
	v_cvt_u32_f32_e32 v4, v4
	v_mul_lo_u32 v7, s20, v4
	v_mul_hi_u32 v7, v4, v7
	v_add_u32_e32 v4, v4, v7
	v_mul_hi_u32 v4, v5, v4
	v_mul_lo_u32 v7, v4, s18
	v_add_u32_e32 v8, 1, v4
	v_sub_u32_e32 v7, v5, v7
	v_subrev_u32_e32 v9, s18, v7
	v_cmp_le_u32_e32 vcc, s18, v7
	v_cndmask_b32_e32 v7, v7, v9, vcc
	v_cndmask_b32_e32 v4, v4, v8, vcc
	v_add_u32_e32 v8, 1, v4
	v_cmp_le_u32_e32 vcc, s18, v7
	v_cndmask_b32_e32 v7, v4, v8, vcc
	v_mov_b32_e32 v8, v3
.LBB0_6:                                ;   in Loop: Header=BB0_2 Depth=1
	s_or_b64 exec, exec, s[0:1]
	v_mul_lo_u32 v4, v8, s18
	v_mul_lo_u32 v11, v7, s19
	v_mad_u64_u32 v[9:10], s[0:1], v7, s18, 0
	s_load_dwordx2 s[0:1], s[6:7], 0x0
	s_add_u32 s16, s16, 1
	v_add3_u32 v4, v10, v11, v4
	v_sub_co_u32_e32 v5, vcc, v5, v9
	v_subb_co_u32_e32 v4, vcc, v6, v4, vcc
	s_waitcnt lgkmcnt(0)
	v_mul_lo_u32 v4, s0, v4
	v_mul_lo_u32 v6, s1, v5
	v_mad_u64_u32 v[1:2], s[0:1], s0, v5, v[1:2]
	s_addc_u32 s17, s17, 0
	s_add_u32 s6, s6, 8
	v_add3_u32 v2, v6, v2, v4
	v_mov_b32_e32 v4, s10
	v_mov_b32_e32 v5, s11
	s_addc_u32 s7, s7, 0
	v_cmp_ge_u64_e32 vcc, s[16:17], v[4:5]
	s_add_u32 s14, s14, 8
	s_addc_u32 s15, s15, 0
	s_cbranch_vccnz .LBB0_9
; %bb.7:                                ;   in Loop: Header=BB0_2 Depth=1
	v_mov_b32_e32 v5, v7
	v_mov_b32_e32 v6, v8
	s_branch .LBB0_2
.LBB0_8:
	v_mov_b32_e32 v8, v6
	v_mov_b32_e32 v7, v5
.LBB0_9:
	s_lshl_b64 s[0:1], s[10:11], 3
	s_add_u32 s0, s12, s0
	s_addc_u32 s1, s13, s1
	s_load_dwordx2 s[6:7], s[0:1], 0x0
	s_load_dwordx2 s[10:11], s[4:5], 0x20
                                        ; implicit-def: $vgpr12
                                        ; implicit-def: $vgpr25
                                        ; implicit-def: $vgpr20
                                        ; implicit-def: $vgpr16
                                        ; implicit-def: $vgpr18
                                        ; implicit-def: $vgpr22
                                        ; implicit-def: $vgpr24
                                        ; implicit-def: $vgpr15
                                        ; implicit-def: $vgpr14
	s_waitcnt lgkmcnt(0)
	v_mad_u64_u32 v[1:2], s[0:1], s6, v7, v[1:2]
	s_mov_b32 s0, 0x1e573ad
	v_mul_lo_u32 v3, s6, v8
	v_mul_lo_u32 v4, s7, v7
	v_mul_hi_u32 v5, v0, s0
	v_cmp_gt_u64_e32 vcc, s[10:11], v[7:8]
	v_cmp_le_u64_e64 s[0:1], s[10:11], v[7:8]
	v_add3_u32 v2, v4, v2, v3
	v_mul_u32_u24_e32 v3, 0x87, v5
	v_sub_u32_e32 v8, v0, v3
	s_and_saveexec_b64 s[4:5], s[0:1]
	s_xor_b64 s[0:1], exec, s[4:5]
; %bb.10:
	v_add_u32_e32 v12, 0x87, v8
	v_add_u32_e32 v25, 0x10e, v8
	;; [unrolled: 1-line block ×9, first 2 shown]
; %bb.11:
	s_or_saveexec_b64 s[4:5], s[0:1]
	v_lshlrev_b64 v[10:11], 2, v[1:2]
	s_xor_b64 exec, exec, s[4:5]
	s_cbranch_execz .LBB0_13
; %bb.12:
	v_mov_b32_e32 v9, 0
	v_mov_b32_e32 v0, s3
	v_add_co_u32_e64 v2, s[0:1], s2, v10
	v_addc_co_u32_e64 v3, s[0:1], v0, v11, s[0:1]
	v_lshlrev_b64 v[0:1], 2, v[8:9]
	s_movk_i32 s6, 0x3000
	v_add_co_u32_e64 v0, s[0:1], v2, v0
	v_addc_co_u32_e64 v1, s[0:1], v3, v1, s[0:1]
	s_movk_i32 s0, 0x1000
	v_add_co_u32_e64 v2, s[0:1], s0, v0
	v_addc_co_u32_e64 v3, s[0:1], 0, v1, s[0:1]
	s_movk_i32 s0, 0x2000
	global_load_dword v4, v[0:1], off offset:1620
	global_load_dword v5, v[0:1], off offset:2160
	;; [unrolled: 1-line block ×5, first 2 shown]
	global_load_dword v13, v[0:1], off
	global_load_dword v14, v[0:1], off offset:1080
	global_load_dword v15, v[0:1], off offset:540
	;; [unrolled: 1-line block ×10, first 2 shown]
	v_add_co_u32_e64 v2, s[0:1], s0, v0
	v_addc_co_u32_e64 v3, s[0:1], 0, v1, s[0:1]
	v_add_co_u32_e64 v0, s[0:1], s6, v0
	v_addc_co_u32_e64 v1, s[0:1], 0, v1, s[0:1]
	global_load_dword v27, v[2:3], off offset:448
	global_load_dword v28, v[2:3], off offset:988
	;; [unrolled: 1-line block ×14, first 2 shown]
	v_lshl_add_u32 v0, v8, 2, 0
	v_add_u32_e32 v1, 0x400, v0
	v_add_u32_e32 v12, 0x87, v8
	;; [unrolled: 1-line block ×16, first 2 shown]
	s_waitcnt vmcnt(23)
	ds_write2_b32 v1, v14, v4 offset0:14 offset1:149
	ds_write2_b32 v2, v5, v6 offset0:28 offset1:163
	;; [unrolled: 1-line block ×3, first 2 shown]
	s_waitcnt vmcnt(22)
	ds_write2_b32 v0, v13, v15 offset1:135
	s_waitcnt vmcnt(20)
	ds_write2_b32 v41, v17, v19 offset0:56 offset1:191
	s_waitcnt vmcnt(18)
	ds_write2_b32 v42, v20, v21 offset0:70 offset1:205
	;; [unrolled: 2-line block ×9, first 2 shown]
	v_add_u32_e32 v22, 0x2a3, v8
	v_add_u32_e32 v1, 0x3600, v0
	;; [unrolled: 1-line block ×7, first 2 shown]
	s_waitcnt vmcnt(2)
	ds_write2_b32 v1, v37, v38 offset0:54 offset1:189
	s_waitcnt vmcnt(0)
	ds_write2_b32 v0, v39, v40 offset0:68 offset1:203
.LBB0_13:
	s_or_b64 exec, exec, s[4:5]
	v_lshlrev_b32_e32 v9, 2, v8
	v_add_u32_e32 v30, 0, v9
	v_add_u32_e32 v0, 0xc00, v30
	;; [unrolled: 1-line block ×3, first 2 shown]
	s_waitcnt lgkmcnt(0)
	s_barrier
	ds_read2_b32 v[0:1], v0 offset0:42 offset1:177
	v_add_u32_e32 v19, 0x1800, v30
	v_add_u32_e32 v17, 0x3200, v30
	ds_read2_b32 v[2:3], v13 offset0:62 offset1:197
	ds_read2_b32 v[4:5], v17 offset0:40 offset1:175
	;; [unrolled: 1-line block ×3, first 2 shown]
	v_add_u32_e32 v28, 0x2a00, v30
	v_add_u32_e32 v31, 0x1c00, v30
	s_movk_i32 s0, 0x3b9c
	s_waitcnt lgkmcnt(1)
	v_sub_f16_e32 v21, v4, v2
	s_waitcnt lgkmcnt(0)
	v_sub_f16_e32 v23, v0, v6
	v_add_f16_e32 v21, v23, v21
	v_add_u32_e32 v23, 0x1000, v30
	ds_read2_b32 v[36:37], v23 offset0:56 offset1:191
	v_add_u32_e32 v23, 0x3600, v30
	ds_read2_b32 v[38:39], v28 offset0:12 offset1:147
	ds_read2_b32 v[40:41], v23 offset0:54 offset1:189
	;; [unrolled: 1-line block ×3, first 2 shown]
	v_sub_f16_sdwa v26, v0, v6 dst_sel:DWORD dst_unused:UNUSED_PAD src0_sel:WORD_1 src1_sel:WORD_1
	v_sub_f16_sdwa v27, v4, v2 dst_sel:DWORD dst_unused:UNUSED_PAD src0_sel:WORD_1 src1_sel:WORD_1
	v_add_f16_e32 v27, v26, v27
	s_waitcnt lgkmcnt(1)
	v_sub_f16_e32 v26, v41, v39
	s_waitcnt lgkmcnt(0)
	v_sub_f16_e32 v29, v37, v43
	v_add_f16_e32 v29, v29, v26
	v_sub_f16_sdwa v26, v37, v43 dst_sel:DWORD dst_unused:UNUSED_PAD src0_sel:WORD_1 src1_sel:WORD_1
	v_sub_f16_sdwa v32, v41, v39 dst_sel:DWORD dst_unused:UNUSED_PAD src0_sel:WORD_1 src1_sel:WORD_1
	v_add_f16_e32 v32, v26, v32
	v_add_u32_e32 v26, 0x400, v30
	ds_read2_b32 v[44:45], v26 offset0:14 offset1:149
	v_add_f16_e32 v26, v43, v39
	v_sub_f16_sdwa v59, v37, v41 dst_sel:DWORD dst_unused:UNUSED_PAD src0_sel:WORD_1 src1_sel:WORD_1
	v_add_f16_sdwa v33, v43, v39 dst_sel:DWORD dst_unused:UNUSED_PAD src0_sel:WORD_1 src1_sel:WORD_1
	s_movk_i32 s1, 0x38b4
	s_waitcnt lgkmcnt(0)
	v_fma_f16 v58, v26, -0.5, v45
	v_lshrrev_b32_e32 v61, 16, v45
	s_mov_b32 s5, 0xbb9c
	v_fma_f16 v26, v59, s0, v58
	v_sub_f16_sdwa v60, v43, v39 dst_sel:DWORD dst_unused:UNUSED_PAD src0_sel:WORD_1 src1_sel:WORD_1
	v_fma_f16 v62, v33, -0.5, v61
	v_sub_f16_e32 v63, v37, v41
	ds_read2_b32 v[46:47], v30 offset1:135
	s_movk_i32 s4, 0x34f2
	s_mov_b32 s6, 0xb8b4
	v_fma_f16 v26, v60, s1, v26
	v_fma_f16 v33, v63, s5, v62
	v_sub_f16_e32 v64, v43, v39
	v_fma_f16 v26, v29, s4, v26
	v_fma_f16 v33, v64, s6, v33
	s_movk_i32 s7, 0x3a79
	v_fma_f16 v33, v32, s4, v33
	v_mul_f16_e32 v34, 0x3a79, v26
	v_mul_f16_e32 v26, 0xb8b4, v26
	v_fma_f16 v66, v33, s7, v26
	v_add_f16_e32 v26, v6, v2
	s_waitcnt lgkmcnt(0)
	v_fma_f16 v67, v26, -0.5, v46
	v_sub_f16_sdwa v68, v0, v4 dst_sel:DWORD dst_unused:UNUSED_PAD src0_sel:WORD_1 src1_sel:WORD_1
	v_fma_f16 v26, v68, s0, v67
	v_sub_f16_sdwa v69, v6, v2 dst_sel:DWORD dst_unused:UNUSED_PAD src0_sel:WORD_1 src1_sel:WORD_1
	v_fma_f16 v26, v69, s1, v26
	v_fma_f16 v70, v21, s4, v26
	v_add_f16_sdwa v26, v6, v2 dst_sel:DWORD dst_unused:UNUSED_PAD src0_sel:WORD_1 src1_sel:WORD_1
	v_lshrrev_b32_e32 v71, 16, v46
	v_fma_f16 v72, v26, -0.5, v71
	v_sub_f16_e32 v73, v0, v4
	v_fma_f16 v26, v73, s5, v72
	v_sub_f16_e32 v74, v6, v2
	v_fma_f16 v26, v74, s6, v26
	v_fma_f16 v65, v33, s1, v34
	;; [unrolled: 1-line block ×3, first 2 shown]
	v_add_f16_e32 v26, v70, v65
	v_add_f16_e32 v33, v75, v66
	v_pack_b32_f16 v76, v26, v33
	v_mul_u32_u24_e32 v26, 10, v8
	v_lshl_add_u32 v77, v26, 2, 0
	v_pk_add_f16 v26, v46, v0
	v_pk_add_f16 v26, v26, v6
	;; [unrolled: 1-line block ×8, first 2 shown]
	v_add_u32_e32 v26, 0x800, v30
	ds_read2_b32 v[48:49], v26 offset0:28 offset1:163
	v_add_u32_e32 v26, 0x1400, v30
	v_pk_add_f16 v80, v78, v79
	v_add_u32_e32 v34, 0x2000, v30
	v_add_u32_e32 v35, 0x2e00, v30
	;; [unrolled: 1-line block ×3, first 2 shown]
	ds_read2_b32 v[50:51], v26 offset0:70 offset1:205
	ds_read2_b32 v[52:53], v34 offset0:112 offset1:247
	;; [unrolled: 1-line block ×4, first 2 shown]
	s_waitcnt lgkmcnt(0)
	s_barrier
	ds_write2_b32 v77, v80, v76 offset1:1
	v_sub_f16_e32 v76, v2, v4
	v_sub_f16_e32 v80, v6, v0
	v_add_f16_e32 v76, v80, v76
	v_add_f16_e32 v80, v0, v4
	v_fma_f16 v46, v80, -0.5, v46
	v_fma_f16 v80, v69, s5, v46
	v_fma_f16 v46, v69, s0, v46
	;; [unrolled: 1-line block ×6, first 2 shown]
	v_add_f16_sdwa v76, v0, v4 dst_sel:DWORD dst_unused:UNUSED_PAD src0_sel:WORD_1 src1_sel:WORD_1
	v_fma_f16 v71, v76, -0.5, v71
	v_sub_f16_sdwa v0, v6, v0 dst_sel:DWORD dst_unused:UNUSED_PAD src0_sel:WORD_1 src1_sel:WORD_1
	v_sub_f16_sdwa v2, v2, v4 dst_sel:DWORD dst_unused:UNUSED_PAD src0_sel:WORD_1 src1_sel:WORD_1
	v_add_f16_e32 v0, v0, v2
	v_fma_f16 v2, v74, s0, v71
	v_fma_f16 v4, v74, s5, v71
	;; [unrolled: 1-line block ×6, first 2 shown]
	v_sub_f16_e32 v4, v39, v41
	v_sub_f16_e32 v6, v43, v37
	v_add_f16_e32 v4, v6, v4
	v_add_f16_e32 v6, v37, v41
	v_fma_f16 v6, v6, -0.5, v45
	v_fma_f16 v45, v60, s5, v6
	v_fma_f16 v6, v60, s0, v6
	;; [unrolled: 1-line block ×6, first 2 shown]
	v_add_f16_sdwa v6, v37, v41 dst_sel:DWORD dst_unused:UNUSED_PAD src0_sel:WORD_1 src1_sel:WORD_1
	v_fma_f16 v6, v6, -0.5, v61
	v_sub_f16_sdwa v37, v43, v37 dst_sel:DWORD dst_unused:UNUSED_PAD src0_sel:WORD_1 src1_sel:WORD_1
	v_sub_f16_sdwa v39, v39, v41 dst_sel:DWORD dst_unused:UNUSED_PAD src0_sel:WORD_1 src1_sel:WORD_1
	v_add_f16_e32 v37, v37, v39
	v_fma_f16 v39, v64, s0, v6
	v_fma_f16 v39, v63, s6, v39
	;; [unrolled: 1-line block ×5, first 2 shown]
	v_mul_f16_e32 v41, 0xbb9c, v45
	v_fma_f16 v6, v37, s4, v6
	v_mul_f16_e32 v37, 0x3b9c, v39
	v_fma_f16 v39, v39, s4, v41
	v_mul_f16_e32 v41, 0x34f2, v4
	v_fma_f16 v41, v6, s0, -v41
	v_mul_f16_e32 v6, 0x34f2, v6
	v_fma_f16 v4, v4, s5, -v6
	v_fma_f16 v37, v45, s4, v37
	v_add_f16_e32 v6, v46, v41
	v_add_f16_e32 v43, v0, v4
	v_pack_b32_f16 v6, v6, v43
	v_add_f16_e32 v43, v80, v37
	v_add_f16_e32 v45, v2, v39
	v_pack_b32_f16 v43, v43, v45
	ds_write2_b32 v77, v43, v6 offset0:2 offset1:3
	v_fma_f16 v6, v68, s5, v67
	v_fma_f16 v6, v69, s6, v6
	;; [unrolled: 1-line block ×12, first 2 shown]
	v_mul_f16_e32 v32, 0x3a79, v27
	v_fma_f16 v32, v29, s1, -v32
	v_mul_f16_e32 v29, 0x3a79, v29
	v_fma_f16 v27, v27, s6, -v29
	v_add_f16_e32 v43, v6, v32
	v_add_f16_e32 v45, v21, v27
	v_pk_add_f16 v29, v78, v79 neg_lo:[0,1] neg_hi:[0,1]
	v_pack_b32_f16 v43, v43, v45
	ds_write2_b32 v77, v43, v29 offset0:4 offset1:5
	v_sub_f16_e32 v29, v70, v65
	v_sub_f16_e32 v37, v80, v37
	;; [unrolled: 1-line block ×4, first 2 shown]
	v_pack_b32_f16 v29, v29, v43
	v_pack_b32_f16 v2, v37, v2
	ds_write2_b32 v77, v29, v2 offset0:6 offset1:7
	v_sub_f16_e32 v2, v46, v41
	v_sub_f16_e32 v6, v6, v32
	;; [unrolled: 1-line block ×4, first 2 shown]
	v_pack_b32_f16 v4, v6, v4
	v_pack_b32_f16 v0, v2, v0
	ds_write2_b32 v77, v0, v4 offset0:8 offset1:9
	v_pk_add_f16 v0, v44, v36
	v_pk_add_f16 v0, v0, v42
	;; [unrolled: 1-line block ×3, first 2 shown]
	v_add_f16_e32 v2, v42, v38
	v_sub_f16_sdwa v4, v42, v38 dst_sel:DWORD dst_unused:UNUSED_PAD src0_sel:WORD_1 src1_sel:WORD_1
	v_sub_f16_e32 v6, v36, v42
	v_sub_f16_e32 v27, v42, v36
	v_add_f16_sdwa v29, v42, v38 dst_sel:DWORD dst_unused:UNUSED_PAD src0_sel:WORD_1 src1_sel:WORD_1
	v_sub_f16_e32 v37, v42, v38
	v_sub_f16_sdwa v32, v36, v42 dst_sel:DWORD dst_unused:UNUSED_PAD src0_sel:WORD_1 src1_sel:WORD_1
	v_sub_f16_sdwa v39, v42, v36 dst_sel:DWORD dst_unused:UNUSED_PAD src0_sel:WORD_1 src1_sel:WORD_1
	;; [unrolled: 1-line block ×3, first 2 shown]
	v_add_f16_e32 v42, v36, v40
	v_sub_f16_e32 v43, v36, v40
	v_add_f16_sdwa v36, v36, v40 dst_sel:DWORD dst_unused:UNUSED_PAD src0_sel:WORD_1 src1_sel:WORD_1
	v_sub_f16_e32 v45, v40, v38
	v_sub_f16_e32 v46, v38, v40
	v_sub_f16_sdwa v58, v40, v38 dst_sel:DWORD dst_unused:UNUSED_PAD src0_sel:WORD_1 src1_sel:WORD_1
	v_sub_f16_sdwa v38, v38, v40 dst_sel:DWORD dst_unused:UNUSED_PAD src0_sel:WORD_1 src1_sel:WORD_1
	v_pk_add_f16 v0, v0, v40
	v_pk_add_f16 v21, v47, v1
	v_add_f16_e32 v40, v7, v3
	v_add_f16_e32 v66, v1, v5
	v_pk_add_f16 v21, v21, v7
	v_sub_f16_sdwa v59, v7, v3 dst_sel:DWORD dst_unused:UNUSED_PAD src0_sel:WORD_1 src1_sel:WORD_1
	v_sub_f16_e32 v60, v1, v7
	v_sub_f16_e32 v61, v7, v1
	v_add_f16_sdwa v62, v7, v3 dst_sel:DWORD dst_unused:UNUSED_PAD src0_sel:WORD_1 src1_sel:WORD_1
	v_sub_f16_e32 v63, v7, v3
	v_sub_f16_sdwa v64, v1, v7 dst_sel:DWORD dst_unused:UNUSED_PAD src0_sel:WORD_1 src1_sel:WORD_1
	v_sub_f16_sdwa v7, v7, v1 dst_sel:DWORD dst_unused:UNUSED_PAD src0_sel:WORD_1 src1_sel:WORD_1
	;; [unrolled: 1-line block ×3, first 2 shown]
	v_sub_f16_e32 v67, v1, v5
	v_add_f16_sdwa v1, v1, v5 dst_sel:DWORD dst_unused:UNUSED_PAD src0_sel:WORD_1 src1_sel:WORD_1
	v_pk_add_f16 v71, v48, v50
	v_fma_f16 v40, v40, -0.5, v47
	v_fma_f16 v66, v66, -0.5, v47
	v_lshrrev_b32_e32 v47, 16, v47
	v_pk_add_f16 v21, v21, v3
	v_sub_f16_e32 v68, v5, v3
	v_sub_f16_e32 v69, v3, v5
	v_sub_f16_sdwa v70, v5, v3 dst_sel:DWORD dst_unused:UNUSED_PAD src0_sel:WORD_1 src1_sel:WORD_1
	v_sub_f16_sdwa v3, v3, v5 dst_sel:DWORD dst_unused:UNUSED_PAD src0_sel:WORD_1 src1_sel:WORD_1
	v_pk_add_f16 v71, v71, v52
	v_add_f16_e32 v90, v50, v56
	v_fma_f16 v1, v1, -0.5, v47
	v_pk_add_f16 v5, v21, v5
	v_pk_add_f16 v21, v49, v51
	v_add_f16_e32 v79, v52, v54
	v_sub_f16_sdwa v80, v52, v54 dst_sel:DWORD dst_unused:UNUSED_PAD src0_sel:WORD_1 src1_sel:WORD_1
	v_pk_add_f16 v71, v71, v54
	v_fma_f16 v62, v62, -0.5, v47
	v_add_f16_e32 v3, v7, v3
	v_fma_f16 v7, v63, s0, v1
	v_fma_f16 v1, v63, s5, v1
	v_fma_f16 v47, v90, -0.5, v48
	v_pk_add_f16 v21, v21, v53
	v_sub_f16_e32 v81, v50, v52
	v_sub_f16_e32 v82, v52, v50
	v_add_f16_sdwa v83, v52, v54 dst_sel:DWORD dst_unused:UNUSED_PAD src0_sel:WORD_1 src1_sel:WORD_1
	v_sub_f16_e32 v84, v52, v54
	v_sub_f16_sdwa v85, v50, v52 dst_sel:DWORD dst_unused:UNUSED_PAD src0_sel:WORD_1 src1_sel:WORD_1
	v_sub_f16_sdwa v52, v52, v50 dst_sel:DWORD dst_unused:UNUSED_PAD src0_sel:WORD_1 src1_sel:WORD_1
	;; [unrolled: 1-line block ×3, first 2 shown]
	v_sub_f16_e32 v91, v50, v56
	v_add_f16_sdwa v50, v50, v56 dst_sel:DWORD dst_unused:UNUSED_PAD src0_sel:WORD_1 src1_sel:WORD_1
	v_sub_f16_e32 v95, v56, v54
	v_sub_f16_e32 v96, v54, v56
	v_sub_f16_sdwa v97, v56, v54 dst_sel:DWORD dst_unused:UNUSED_PAD src0_sel:WORD_1 src1_sel:WORD_1
	v_sub_f16_sdwa v54, v54, v56 dst_sel:DWORD dst_unused:UNUSED_PAD src0_sel:WORD_1 src1_sel:WORD_1
	v_pk_add_f16 v56, v71, v56
	v_fma_f16 v71, v79, -0.5, v48
	v_lshrrev_b32_e32 v79, 16, v48
	v_fma_f16 v7, v67, s6, v7
	v_fma_f16 v1, v67, s1, v1
	;; [unrolled: 1-line block ×4, first 2 shown]
	v_pk_add_f16 v21, v21, v55
	v_fma_f16 v7, v3, s4, v7
	v_fma_f16 v1, v3, s4, v1
	v_add_f16_e32 v3, v82, v96
	v_fma_f16 v48, v89, s1, v48
	v_fma_f16 v47, v89, s6, v47
	v_add_f16_e32 v72, v53, v55
	v_sub_f16_sdwa v73, v53, v55 dst_sel:DWORD dst_unused:UNUSED_PAD src0_sel:WORD_1 src1_sel:WORD_1
	v_sub_f16_e32 v74, v51, v53
	v_sub_f16_e32 v75, v53, v51
	v_add_f16_sdwa v76, v53, v55 dst_sel:DWORD dst_unused:UNUSED_PAD src0_sel:WORD_1 src1_sel:WORD_1
	v_sub_f16_e32 v77, v53, v55
	v_sub_f16_sdwa v78, v51, v53 dst_sel:DWORD dst_unused:UNUSED_PAD src0_sel:WORD_1 src1_sel:WORD_1
	v_sub_f16_sdwa v53, v53, v51 dst_sel:DWORD dst_unused:UNUSED_PAD src0_sel:WORD_1 src1_sel:WORD_1
	v_sub_f16_sdwa v86, v51, v57 dst_sel:DWORD dst_unused:UNUSED_PAD src0_sel:WORD_1 src1_sel:WORD_1
	v_add_f16_e32 v87, v51, v57
	v_sub_f16_e32 v88, v51, v57
	v_add_f16_sdwa v51, v51, v57 dst_sel:DWORD dst_unused:UNUSED_PAD src0_sel:WORD_1 src1_sel:WORD_1
	v_sub_f16_e32 v92, v57, v55
	v_sub_f16_e32 v93, v55, v57
	v_sub_f16_sdwa v94, v57, v55 dst_sel:DWORD dst_unused:UNUSED_PAD src0_sel:WORD_1 src1_sel:WORD_1
	v_sub_f16_sdwa v55, v55, v57 dst_sel:DWORD dst_unused:UNUSED_PAD src0_sel:WORD_1 src1_sel:WORD_1
	v_pk_add_f16 v57, v21, v57
	v_add_f16_e32 v60, v60, v68
	v_add_f16_e32 v68, v81, v95
	v_fma_f16 v21, v89, s0, v71
	v_fma_f16 v81, v83, -0.5, v79
	v_fma_f16 v48, v3, s4, v48
	v_fma_f16 v3, v3, s4, v47
	v_fma_f16 v47, v50, -0.5, v79
	v_fma_f16 v21, v80, s1, v21
	v_fma_f16 v83, v91, s5, v81
	v_add_f16_e32 v50, v52, v54
	v_fma_f16 v52, v84, s0, v47
	v_add_f16_e32 v64, v64, v70
	v_add_f16_e32 v70, v85, v97
	v_fma_f16 v21, v68, s4, v21
	v_fma_f16 v83, v84, s6, v83
	;; [unrolled: 1-line block ×5, first 2 shown]
	v_mul_f16_e32 v85, 0x3a79, v21
	v_mul_f16_e32 v21, 0xb8b4, v21
	v_fma_f16 v52, v50, s4, v52
	v_fma_f16 v47, v91, s1, v47
	;; [unrolled: 1-line block ×6, first 2 shown]
	v_mul_f16_e32 v50, 0x3b9c, v52
	v_fma_f16 v21, v59, s1, v21
	v_fma_f16 v50, v48, s4, v50
	v_mul_f16_e32 v48, 0xbb9c, v48
	v_fma_f16 v95, v60, s4, v21
	v_fma_f16 v21, v67, s5, v62
	v_add_f16_e32 v61, v61, v69
	v_fma_f16 v69, v59, s5, v66
	v_fma_f16 v66, v59, s0, v66
	;; [unrolled: 1-line block ×3, first 2 shown]
	v_mul_f16_e32 v52, 0x34f2, v3
	v_fma_f16 v21, v63, s6, v21
	v_fma_f16 v69, v65, s1, v69
	;; [unrolled: 1-line block ×3, first 2 shown]
	v_fma_f16 v52, v47, s0, -v52
	v_mul_f16_e32 v47, 0x34f2, v47
	v_fma_f16 v97, v64, s4, v21
	v_fma_f16 v69, v61, s4, v69
	;; [unrolled: 1-line block ×3, first 2 shown]
	v_fma_f16 v3, v3, s5, -v47
	v_add_f16_e32 v21, v95, v85
	v_add_f16_e32 v98, v97, v83
	;; [unrolled: 1-line block ×4, first 2 shown]
	v_pack_b32_f16 v98, v21, v98
	v_mul_i32_i24_e32 v21, 10, v12
	v_pack_b32_f16 v47, v47, v54
	v_add_f16_e32 v54, v69, v50
	v_add_f16_e32 v66, v7, v48
	v_lshl_add_u32 v21, v21, 2, 0
	v_pack_b32_f16 v54, v54, v66
	ds_write2_b32 v21, v54, v47 offset0:2 offset1:3
	v_fma_f16 v40, v65, s5, v40
	v_fma_f16 v54, v89, s5, v71
	;; [unrolled: 1-line block ×10, first 2 shown]
	v_mul_f16_e32 v60, 0x3a79, v54
	v_fma_f16 v47, v63, s1, v47
	v_fma_f16 v60, v59, s1, -v60
	v_mul_f16_e32 v59, 0x3a79, v59
	v_fma_f16 v47, v64, s4, v47
	v_fma_f16 v54, v54, s6, -v59
	v_pk_add_f16 v99, v5, v56
	v_pk_add_f16 v5, v5, v56 neg_lo:[0,1] neg_hi:[0,1]
	v_add_f16_e32 v56, v40, v60
	v_add_f16_e32 v59, v47, v54
	v_pack_b32_f16 v56, v56, v59
	ds_write2_b32 v21, v56, v5 offset0:4 offset1:5
	v_sub_f16_e32 v5, v95, v85
	v_sub_f16_e32 v50, v69, v50
	;; [unrolled: 1-line block ×4, first 2 shown]
	v_pack_b32_f16 v5, v5, v56
	v_pack_b32_f16 v7, v50, v7
	ds_write2_b32 v21, v5, v7 offset0:6 offset1:7
	v_sub_f16_e32 v5, v61, v52
	v_sub_f16_e32 v7, v40, v60
	;; [unrolled: 1-line block ×4, first 2 shown]
	v_pack_b32_f16 v3, v7, v3
	v_pack_b32_f16 v1, v5, v1
	ds_write2_b32 v21, v1, v3 offset0:8 offset1:9
	v_fma_f16 v2, v2, -0.5, v44
	v_fma_f16 v3, v42, -0.5, v44
	v_lshrrev_b32_e32 v5, 16, v44
	v_fma_f16 v40, v72, -0.5, v49
	v_lshrrev_b32_e32 v44, 16, v49
	v_add_f16_e32 v1, v6, v45
	v_add_f16_e32 v6, v32, v58
	v_fma_f16 v32, v86, s0, v40
	v_fma_f16 v47, v76, -0.5, v44
	v_add_f16_e32 v7, v74, v92
	v_fma_f16 v32, v73, s1, v32
	v_fma_f16 v48, v88, s5, v47
	v_add_f16_e32 v45, v78, v94
	v_fma_f16 v32, v7, s4, v32
	v_fma_f16 v48, v77, s6, v48
	v_fma_f16 v42, v87, -0.5, v49
	v_fma_f16 v48, v45, s4, v48
	v_mul_f16_e32 v49, 0x3a79, v32
	v_mul_f16_e32 v32, 0xb8b4, v32
	v_fma_f16 v49, v48, s1, v49
	v_fma_f16 v48, v48, s7, v32
	;; [unrolled: 1-line block ×3, first 2 shown]
	v_fma_f16 v29, v29, -0.5, v5
	v_add_f16_e32 v27, v27, v46
	v_fma_f16 v46, v4, s5, v3
	v_fma_f16 v3, v4, s0, v3
	v_fma_f16 v5, v36, -0.5, v5
	v_fma_f16 v2, v41, s5, v2
	v_fma_f16 v32, v4, s1, v32
	;; [unrolled: 1-line block ×11, first 2 shown]
	v_add_f16_e32 v27, v39, v38
	v_fma_f16 v36, v43, s6, v36
	v_fma_f16 v5, v43, s1, v5
	;; [unrolled: 1-line block ×9, first 2 shown]
	v_add_f16_e32 v27, v75, v93
	v_fma_f16 v38, v86, s1, v38
	v_fma_f16 v39, v86, s6, v39
	;; [unrolled: 1-line block ×7, first 2 shown]
	v_fma_f16 v39, v51, -0.5, v44
	v_fma_f16 v2, v6, s4, v2
	v_fma_f16 v4, v73, s6, v4
	;; [unrolled: 1-line block ×6, first 2 shown]
	v_add_f16_e32 v42, v53, v55
	v_fma_f16 v44, v88, s6, v44
	v_fma_f16 v39, v77, s5, v39
	;; [unrolled: 1-line block ×3, first 2 shown]
	v_mul_f16_e32 v7, 0x3a79, v4
	v_fma_f16 v44, v42, s4, v44
	v_fma_f16 v39, v88, s1, v39
	v_fma_f16 v7, v6, s1, -v7
	v_mul_f16_e32 v6, 0x3a79, v6
	v_add_f16_e32 v32, v50, v49
	v_add_f16_e32 v54, v52, v48
	v_fma_f16 v39, v42, s4, v39
	v_mul_f16_e32 v42, 0x3b9c, v44
	v_fma_f16 v4, v4, s6, -v6
	v_pack_b32_f16 v54, v32, v54
	v_mul_i32_i24_e32 v32, 10, v25
	v_fma_f16 v42, v38, s4, v42
	v_mul_f16_e32 v38, 0xbb9c, v38
	v_add_f16_e32 v6, v1, v7
	v_add_f16_e32 v29, v2, v4
	v_lshl_add_u32 v32, v32, 2, 0
	v_pk_add_f16 v56, v0, v57
	v_fma_f16 v38, v44, s4, v38
	v_mul_f16_e32 v44, 0x34f2, v27
	v_pk_add_f16 v0, v0, v57 neg_lo:[0,1] neg_hi:[0,1]
	v_pack_b32_f16 v6, v6, v29
	ds_write2_b32 v21, v99, v98 offset1:1
	v_fma_f16 v44, v39, s0, -v44
	v_mul_f16_e32 v39, 0x34f2, v39
	v_add_f16_e32 v53, v36, v38
	ds_write2_b32 v32, v6, v0 offset0:4 offset1:5
	v_sub_f16_e32 v0, v50, v49
	v_sub_f16_e32 v6, v46, v42
	;; [unrolled: 1-line block ×4, first 2 shown]
	v_fma_f16 v27, v27, s5, -v39
	v_pack_b32_f16 v0, v0, v29
	v_pack_b32_f16 v6, v6, v36
	v_add_f16_e32 v39, v3, v44
	ds_write2_b32 v32, v0, v6 offset0:6 offset1:7
	v_sub_f16_e32 v0, v3, v44
	v_sub_f16_e32 v1, v1, v7
	;; [unrolled: 1-line block ×4, first 2 shown]
	v_pack_b32_f16 v1, v1, v2
	v_pack_b32_f16 v0, v0, v3
	s_mov_b32 s7, 0xcccd
	ds_write2_b32 v32, v0, v1 offset0:8 offset1:9
	v_mul_u32_u24_sdwa v0, v12, s7 dst_sel:DWORD dst_unused:UNUSED_PAD src0_sel:WORD_0 src1_sel:DWORD
	v_lshrrev_b32_e32 v43, 19, v0
	v_add_f16_e32 v51, v5, v27
	v_mul_lo_u16_e32 v0, 10, v43
	v_pack_b32_f16 v39, v39, v51
	v_add_f16_e32 v51, v46, v42
	v_sub_u16_e32 v44, v12, v0
	v_pack_b32_f16 v51, v51, v53
	v_lshlrev_b32_e32 v0, 4, v44
	ds_write2_b32 v32, v56, v54 offset1:1
	ds_write2_b32 v32, v51, v39 offset0:2 offset1:3
	s_waitcnt lgkmcnt(0)
	s_barrier
	global_load_dwordx4 v[4:7], v0, s[8:9]
	v_mul_u32_u24_sdwa v0, v25, s7 dst_sel:DWORD dst_unused:UNUSED_PAD src0_sel:WORD_0 src1_sel:DWORD
	v_lshrrev_b32_e32 v45, 19, v0
	v_mul_lo_u16_e32 v0, 10, v45
	v_sub_u16_e32 v46, v25, v0
	v_lshlrev_b32_e32 v0, 4, v46
	global_load_dwordx4 v[36:39], v0, s[8:9]
	v_mul_u32_u24_sdwa v0, v16, s7 dst_sel:DWORD dst_unused:UNUSED_PAD src0_sel:WORD_0 src1_sel:DWORD
	v_lshrrev_b32_e32 v29, 19, v0
	v_mul_lo_u16_e32 v0, 10, v29
	v_sub_u16_e32 v42, v16, v0
	v_lshlrev_b32_e32 v0, 4, v42
	global_load_dwordx4 v[50:53], v0, s[8:9]
	v_add_u32_e32 v0, 0xe00, v30
	ds_read2_b32 v[40:41], v0 offset0:49 offset1:184
	v_add_u32_e32 v0, 0x1a00, v30
	ds_read2_b32 v[54:55], v0 offset0:91 offset1:226
	v_mul_u32_u24_sdwa v0, v18, s7 dst_sel:DWORD dst_unused:UNUSED_PAD src0_sel:WORD_0 src1_sel:DWORD
	v_lshrrev_b32_e32 v47, 19, v0
	s_waitcnt lgkmcnt(1)
	v_lshrrev_b32_e32 v27, 16, v40
	v_mul_lo_u16_e32 v0, 10, v47
	v_sub_u16_e32 v48, v18, v0
	v_lshlrev_b32_e32 v0, 4, v48
	global_load_dwordx4 v[57:60], v0, s[8:9]
	s_movk_i32 s10, 0xcd
	v_mul_u32_u24_e32 v43, 0xc8, v43
	v_mul_u32_u24_e32 v29, 0xc8, v29
	s_waitcnt vmcnt(3)
	v_mul_f16_sdwa v49, v40, v4 dst_sel:DWORD dst_unused:UNUSED_PAD src0_sel:DWORD src1_sel:WORD_1
	v_fma_f16 v78, v27, v4, v49
	v_mul_f16_sdwa v27, v27, v4 dst_sel:DWORD dst_unused:UNUSED_PAD src0_sel:DWORD src1_sel:WORD_1
	v_fma_f16 v80, v40, v4, -v27
	v_add_u32_e32 v27, 0x2800, v30
	s_waitcnt lgkmcnt(0)
	v_lshrrev_b32_e32 v4, 16, v54
	ds_read2_b32 v[61:62], v27 offset0:5 offset1:140
	v_mul_f16_sdwa v27, v54, v5 dst_sel:DWORD dst_unused:UNUSED_PAD src0_sel:DWORD src1_sel:WORD_1
	v_fma_f16 v79, v4, v5, v27
	v_mul_f16_sdwa v4, v4, v5 dst_sel:DWORD dst_unused:UNUSED_PAD src0_sel:DWORD src1_sel:WORD_1
	v_fma_f16 v83, v54, v5, -v4
	v_add_u32_e32 v4, 0x3400, v30
	ds_read2_b32 v[4:5], v4 offset0:47 offset1:182
	s_waitcnt lgkmcnt(1)
	v_lshrrev_b32_e32 v27, 16, v61
	v_mul_f16_sdwa v40, v61, v6 dst_sel:DWORD dst_unused:UNUSED_PAD src0_sel:DWORD src1_sel:WORD_1
	v_fma_f16 v81, v27, v6, v40
	v_mul_f16_sdwa v27, v27, v6 dst_sel:DWORD dst_unused:UNUSED_PAD src0_sel:DWORD src1_sel:WORD_1
	v_fma_f16 v84, v61, v6, -v27
	s_waitcnt lgkmcnt(0)
	v_lshrrev_b32_e32 v6, 16, v4
	v_mul_f16_sdwa v27, v4, v7 dst_sel:DWORD dst_unused:UNUSED_PAD src0_sel:DWORD src1_sel:WORD_1
	v_fma_f16 v82, v6, v7, v27
	v_mul_f16_sdwa v6, v6, v7 dst_sel:DWORD dst_unused:UNUSED_PAD src0_sel:DWORD src1_sel:WORD_1
	v_fma_f16 v85, v4, v7, -v6
	v_lshrrev_b32_e32 v4, 16, v41
	s_waitcnt vmcnt(2)
	v_mul_f16_sdwa v6, v4, v36 dst_sel:DWORD dst_unused:UNUSED_PAD src0_sel:DWORD src1_sel:WORD_1
	v_fma_f16 v71, v41, v36, -v6
	v_mul_f16_sdwa v6, v41, v36 dst_sel:DWORD dst_unused:UNUSED_PAD src0_sel:DWORD src1_sel:WORD_1
	v_fma_f16 v69, v4, v36, v6
	v_lshrrev_b32_e32 v4, 16, v55
	v_mul_f16_sdwa v6, v4, v37 dst_sel:DWORD dst_unused:UNUSED_PAD src0_sel:DWORD src1_sel:WORD_1
	v_fma_f16 v73, v55, v37, -v6
	v_mul_f16_sdwa v6, v55, v37 dst_sel:DWORD dst_unused:UNUSED_PAD src0_sel:DWORD src1_sel:WORD_1
	v_fma_f16 v70, v4, v37, v6
	v_lshrrev_b32_e32 v4, 16, v62
	v_mul_f16_sdwa v6, v4, v38 dst_sel:DWORD dst_unused:UNUSED_PAD src0_sel:DWORD src1_sel:WORD_1
	v_fma_f16 v75, v62, v38, -v6
	v_mul_f16_sdwa v6, v62, v38 dst_sel:DWORD dst_unused:UNUSED_PAD src0_sel:DWORD src1_sel:WORD_1
	v_fma_f16 v72, v4, v38, v6
	v_add_u32_e32 v6, 0x1200, v30
	ds_read2_b32 v[36:37], v6 offset0:63 offset1:198
	v_lshrrev_b32_e32 v4, 16, v5
	v_mul_f16_sdwa v6, v4, v39 dst_sel:DWORD dst_unused:UNUSED_PAD src0_sel:DWORD src1_sel:WORD_1
	v_fma_f16 v77, v5, v39, -v6
	v_mul_f16_sdwa v5, v5, v39 dst_sel:DWORD dst_unused:UNUSED_PAD src0_sel:DWORD src1_sel:WORD_1
	v_fma_f16 v74, v4, v39, v5
	v_add_u32_e32 v5, 0x1e00, v30
	s_waitcnt lgkmcnt(0)
	v_lshrrev_b32_e32 v4, 16, v36
	ds_read2_b32 v[38:39], v5 offset0:105 offset1:240
	s_waitcnt vmcnt(1)
	v_mul_f16_sdwa v5, v36, v50 dst_sel:DWORD dst_unused:UNUSED_PAD src0_sel:DWORD src1_sel:WORD_1
	v_fma_f16 v61, v4, v50, v5
	v_mul_f16_sdwa v4, v4, v50 dst_sel:DWORD dst_unused:UNUSED_PAD src0_sel:DWORD src1_sel:WORD_1
	v_fma_f16 v62, v36, v50, -v4
	v_mul_u32_u24_sdwa v4, v22, s7 dst_sel:DWORD dst_unused:UNUSED_PAD src0_sel:WORD_0 src1_sel:DWORD
	v_lshrrev_b32_e32 v49, 19, v4
	v_mul_lo_u16_e32 v4, 10, v49
	v_sub_u16_e32 v50, v22, v4
	v_lshlrev_b32_e32 v4, 4, v50
	global_load_dwordx4 v[4:7], v4, s[8:9]
	v_mul_lo_u16_sdwa v0, v8, s10 dst_sel:DWORD dst_unused:UNUSED_PAD src0_sel:BYTE_0 src1_sel:DWORD
	v_lshrrev_b16_e32 v86, 11, v0
	v_mul_lo_u16_e32 v0, 10, v86
	v_sub_u16_e32 v87, v8, v0
	v_mov_b32_e32 v0, 4
	v_lshlrev_b32_sdwa v0, v0, v87 dst_sel:DWORD dst_unused:UNUSED_PAD src0_sel:DWORD src1_sel:BYTE_0
	global_load_dwordx4 v[0:3], v0, s[8:9]
	v_add_u32_e32 v36, 0x2c00, v30
	s_waitcnt lgkmcnt(0)
	v_lshrrev_b32_e32 v27, 16, v38
	ds_read2_b32 v[40:41], v36 offset0:19 offset1:154
	v_mul_f16_sdwa v36, v38, v51 dst_sel:DWORD dst_unused:UNUSED_PAD src0_sel:DWORD src1_sel:WORD_1
	v_fma_f16 v63, v27, v51, v36
	v_add_u32_e32 v36, 0x3800, v30
	ds_read2_b32 v[88:89], v36 offset0:61 offset1:196
	v_mul_f16_sdwa v27, v27, v51 dst_sel:DWORD dst_unused:UNUSED_PAD src0_sel:DWORD src1_sel:WORD_1
	v_fma_f16 v66, v38, v51, -v27
	s_waitcnt lgkmcnt(1)
	v_lshrrev_b32_e32 v27, 16, v40
	v_mul_f16_sdwa v36, v40, v52 dst_sel:DWORD dst_unused:UNUSED_PAD src0_sel:DWORD src1_sel:WORD_1
	v_fma_f16 v64, v27, v52, v36
	v_mul_f16_sdwa v27, v27, v52 dst_sel:DWORD dst_unused:UNUSED_PAD src0_sel:DWORD src1_sel:WORD_1
	v_fma_f16 v67, v40, v52, -v27
	s_waitcnt lgkmcnt(0)
	v_lshrrev_b32_e32 v27, 16, v88
	v_mul_f16_sdwa v36, v88, v53 dst_sel:DWORD dst_unused:UNUSED_PAD src0_sel:DWORD src1_sel:WORD_1
	v_fma_f16 v65, v27, v53, v36
	v_mul_f16_sdwa v27, v27, v53 dst_sel:DWORD dst_unused:UNUSED_PAD src0_sel:DWORD src1_sel:WORD_1
	v_fma_f16 v68, v88, v53, -v27
	v_lshrrev_b32_e32 v27, 16, v37
	s_waitcnt vmcnt(2)
	v_mul_f16_sdwa v36, v27, v57 dst_sel:DWORD dst_unused:UNUSED_PAD src0_sel:DWORD src1_sel:WORD_1
	v_fma_f16 v54, v37, v57, -v36
	v_mul_f16_sdwa v36, v37, v57 dst_sel:DWORD dst_unused:UNUSED_PAD src0_sel:DWORD src1_sel:WORD_1
	v_fma_f16 v52, v27, v57, v36
	v_lshrrev_b32_e32 v27, 16, v39
	v_mul_f16_sdwa v36, v27, v58 dst_sel:DWORD dst_unused:UNUSED_PAD src0_sel:DWORD src1_sel:WORD_1
	v_fma_f16 v56, v39, v58, -v36
	v_mul_f16_sdwa v36, v39, v58 dst_sel:DWORD dst_unused:UNUSED_PAD src0_sel:DWORD src1_sel:WORD_1
	v_fma_f16 v53, v27, v58, v36
	v_lshrrev_b32_e32 v27, 16, v41
	v_mul_f16_sdwa v36, v27, v59 dst_sel:DWORD dst_unused:UNUSED_PAD src0_sel:DWORD src1_sel:WORD_1
	v_fma_f16 v58, v41, v59, -v36
	v_mul_f16_sdwa v36, v41, v59 dst_sel:DWORD dst_unused:UNUSED_PAD src0_sel:DWORD src1_sel:WORD_1
	v_fma_f16 v55, v27, v59, v36
	v_lshrrev_b32_e32 v27, 16, v89
	v_mul_f16_sdwa v36, v27, v60 dst_sel:DWORD dst_unused:UNUSED_PAD src0_sel:DWORD src1_sel:WORD_1
	v_fma_f16 v59, v89, v60, -v36
	v_mul_f16_sdwa v36, v89, v60 dst_sel:DWORD dst_unused:UNUSED_PAD src0_sel:DWORD src1_sel:WORD_1
	s_movk_i32 s7, 0xffdc
	v_fma_f16 v57, v27, v60, v36
	v_lshl_add_u32 v36, v20, 2, 0
	v_mad_i32_i24 v40, v25, s7, v32
	v_add_u32_e32 v27, 0x1600, v30
	v_lshl_add_u32 v39, v16, 2, 0
	v_lshl_add_u32 v38, v18, 2, 0
	;; [unrolled: 1-line block ×3, first 2 shown]
	ds_read_b32 v90, v36
	ds_read_b32 v76, v39
	;; [unrolled: 1-line block ×4, first 2 shown]
	v_mad_i32_i24 v41, v12, s7, v21
	ds_read_b32 v92, v40
	ds_read_b32 v93, v41
	ds_read_b32 v94, v30 offset:15660
	ds_read2_b32 v[88:89], v27 offset0:77 offset1:212
	s_waitcnt lgkmcnt(7)
	v_lshrrev_b32_e32 v91, 16, v90
	v_mul_u32_u24_e32 v86, 0xc8, v86
	s_waitcnt vmcnt(0)
	v_mul_f16_sdwa v95, v0, v91 dst_sel:DWORD dst_unused:UNUSED_PAD src0_sel:WORD_1 src1_sel:DWORD
	v_fma_f16 v95, v0, v90, -v95
	v_mul_f16_sdwa v90, v0, v90 dst_sel:DWORD dst_unused:UNUSED_PAD src0_sel:WORD_1 src1_sel:DWORD
	v_fma_f16 v96, v0, v91, v90
	s_waitcnt lgkmcnt(0)
	v_lshrrev_b32_e32 v0, 16, v89
	v_add_u32_e32 v90, 0x2200, v30
	v_mul_f16_sdwa v97, v89, v1 dst_sel:DWORD dst_unused:UNUSED_PAD src0_sel:DWORD src1_sel:WORD_1
	ds_read2_b32 v[90:91], v90 offset0:119 offset1:254
	v_fma_f16 v97, v0, v1, v97
	v_mul_f16_sdwa v0, v0, v1 dst_sel:DWORD dst_unused:UNUSED_PAD src0_sel:DWORD src1_sel:WORD_1
	v_fma_f16 v89, v89, v1, -v0
	v_add_u32_e32 v0, 0x3000, v30
	ds_read2_b32 v[0:1], v0 offset0:33 offset1:168
	s_waitcnt lgkmcnt(1)
	v_lshrrev_b32_e32 v98, 16, v91
	v_mul_f16_sdwa v99, v91, v2 dst_sel:DWORD dst_unused:UNUSED_PAD src0_sel:DWORD src1_sel:WORD_1
	v_fma_f16 v99, v98, v2, v99
	v_mul_f16_sdwa v98, v98, v2 dst_sel:DWORD dst_unused:UNUSED_PAD src0_sel:DWORD src1_sel:WORD_1
	v_fma_f16 v2, v91, v2, -v98
	s_waitcnt lgkmcnt(0)
	v_lshrrev_b32_e32 v91, 16, v1
	v_mul_f16_sdwa v98, v1, v3 dst_sel:DWORD dst_unused:UNUSED_PAD src0_sel:DWORD src1_sel:WORD_1
	v_fma_f16 v98, v91, v3, v98
	v_mul_f16_sdwa v91, v91, v3 dst_sel:DWORD dst_unused:UNUSED_PAD src0_sel:DWORD src1_sel:WORD_1
	v_fma_f16 v1, v1, v3, -v91
	v_lshrrev_b32_e32 v3, 16, v88
	v_mul_f16_sdwa v91, v3, v4 dst_sel:DWORD dst_unused:UNUSED_PAD src0_sel:DWORD src1_sel:WORD_1
	v_fma_f16 v91, v88, v4, -v91
	v_mul_f16_sdwa v88, v88, v4 dst_sel:DWORD dst_unused:UNUSED_PAD src0_sel:DWORD src1_sel:WORD_1
	v_fma_f16 v3, v3, v4, v88
	v_lshrrev_b32_e32 v4, 16, v90
	v_mul_f16_sdwa v88, v4, v5 dst_sel:DWORD dst_unused:UNUSED_PAD src0_sel:DWORD src1_sel:WORD_1
	v_fma_f16 v88, v90, v5, -v88
	v_mul_f16_sdwa v90, v90, v5 dst_sel:DWORD dst_unused:UNUSED_PAD src0_sel:DWORD src1_sel:WORD_1
	v_fma_f16 v4, v4, v5, v90
	v_lshrrev_b32_e32 v5, 16, v0
	v_mul_f16_sdwa v90, v5, v6 dst_sel:DWORD dst_unused:UNUSED_PAD src0_sel:DWORD src1_sel:WORD_1
	v_fma_f16 v90, v0, v6, -v90
	v_mul_f16_sdwa v0, v0, v6 dst_sel:DWORD dst_unused:UNUSED_PAD src0_sel:DWORD src1_sel:WORD_1
	v_fma_f16 v5, v5, v6, v0
	v_lshrrev_b32_e32 v0, 16, v94
	ds_read_b32 v6, v30
	v_mul_f16_sdwa v100, v0, v7 dst_sel:DWORD dst_unused:UNUSED_PAD src0_sel:DWORD src1_sel:WORD_1
	v_fma_f16 v100, v94, v7, -v100
	v_mul_f16_sdwa v94, v94, v7 dst_sel:DWORD dst_unused:UNUSED_PAD src0_sel:DWORD src1_sel:WORD_1
	v_fma_f16 v7, v0, v7, v94
	v_sub_f16_e32 v0, v95, v89
	v_sub_f16_e32 v94, v1, v2
	v_add_f16_e32 v94, v0, v94
	v_sub_f16_e32 v0, v96, v97
	v_sub_f16_e32 v101, v98, v99
	v_add_f16_e32 v101, v0, v101
	v_mov_b32_e32 v0, 2
	v_lshlrev_b32_sdwa v87, v0, v87 dst_sel:DWORD dst_unused:UNUSED_PAD src0_sel:DWORD src1_sel:BYTE_0
	s_waitcnt lgkmcnt(0)
	v_lshrrev_b32_e32 v102, 16, v6
	v_add3_u32 v86, 0, v86, v87
	v_add_f16_e32 v87, v6, v95
	v_add_f16_e32 v103, v102, v96
	;; [unrolled: 1-line block ×8, first 2 shown]
	v_pack_b32_f16 v87, v87, v103
	v_add_f16_e32 v103, v89, v2
	v_add_f16_e32 v107, v97, v99
	v_fma_f16 v103, v103, -0.5, v6
	v_sub_f16_e32 v104, v96, v98
	v_fma_f16 v107, v107, -0.5, v102
	v_sub_f16_e32 v108, v95, v1
	v_fma_f16 v105, v104, s0, v103
	v_sub_f16_e32 v106, v97, v99
	v_fma_f16 v109, v108, s5, v107
	;; [unrolled: 2-line block ×3, first 2 shown]
	v_fma_f16 v109, v110, s6, v109
	v_fma_f16 v105, v94, s4, v105
	;; [unrolled: 1-line block ×3, first 2 shown]
	v_pack_b32_f16 v105, v105, v109
	s_barrier
	ds_write2_b32 v86, v87, v105 offset1:10
	v_add_f16_e32 v87, v95, v1
	v_fma_f16 v6, v87, -0.5, v6
	v_sub_f16_e32 v87, v89, v95
	v_sub_f16_e32 v1, v2, v1
	v_fma_f16 v2, v106, s5, v6
	v_fma_f16 v6, v106, s0, v6
	v_add_f16_e32 v1, v87, v1
	v_fma_f16 v2, v104, s1, v2
	v_fma_f16 v6, v104, s6, v6
	;; [unrolled: 1-line block ×4, first 2 shown]
	v_add_f16_e32 v6, v96, v98
	v_fma_f16 v6, v6, -0.5, v102
	v_sub_f16_e32 v87, v97, v96
	v_sub_f16_e32 v89, v99, v98
	v_add_f16_e32 v87, v87, v89
	v_fma_f16 v89, v110, s0, v6
	v_fma_f16 v6, v110, s5, v6
	;; [unrolled: 1-line block ×6, first 2 shown]
	v_pack_b32_f16 v2, v2, v89
	v_pack_b32_f16 v1, v1, v6
	ds_write2_b32 v86, v2, v1 offset0:20 offset1:30
	v_fma_f16 v1, v104, s5, v103
	v_fma_f16 v2, v108, s0, v107
	;; [unrolled: 1-line block ×6, first 2 shown]
	v_pack_b32_f16 v1, v1, v2
	ds_write_b32 v86, v1 offset:160
	v_sub_f16_e32 v1, v80, v83
	v_sub_f16_e32 v2, v85, v84
	v_add_f16_e32 v1, v1, v2
	v_sub_f16_e32 v2, v78, v79
	v_sub_f16_e32 v6, v82, v81
	v_add_f16_e32 v2, v2, v6
	v_lshlrev_b32_e32 v6, 2, v44
	v_lshrrev_b32_e32 v44, 16, v93
	v_add3_u32 v6, 0, v43, v6
	v_add_f16_e32 v43, v93, v80
	v_add_f16_e32 v86, v44, v78
	;; [unrolled: 1-line block ×8, first 2 shown]
	v_pack_b32_f16 v43, v43, v86
	v_add_f16_e32 v86, v83, v84
	v_add_f16_e32 v95, v79, v81
	v_fma_f16 v86, v86, -0.5, v93
	v_sub_f16_e32 v87, v78, v82
	v_fma_f16 v95, v95, -0.5, v44
	v_sub_f16_e32 v96, v80, v85
	v_fma_f16 v89, v87, s0, v86
	v_sub_f16_e32 v94, v79, v81
	v_fma_f16 v97, v96, s5, v95
	;; [unrolled: 2-line block ×3, first 2 shown]
	v_fma_f16 v97, v98, s6, v97
	v_fma_f16 v89, v1, s4, v89
	;; [unrolled: 1-line block ×3, first 2 shown]
	v_pack_b32_f16 v89, v89, v97
	ds_write2_b32 v6, v43, v89 offset1:10
	v_add_f16_e32 v43, v80, v85
	v_fma_f16 v43, v43, -0.5, v93
	v_sub_f16_e32 v80, v83, v80
	v_sub_f16_e32 v83, v84, v85
	v_add_f16_e32 v80, v80, v83
	v_fma_f16 v83, v94, s5, v43
	v_fma_f16 v43, v94, s0, v43
	;; [unrolled: 1-line block ×6, first 2 shown]
	v_add_f16_e32 v80, v78, v82
	v_fma_f16 v44, v80, -0.5, v44
	v_sub_f16_e32 v78, v79, v78
	v_sub_f16_e32 v79, v81, v82
	v_add_f16_e32 v78, v78, v79
	v_fma_f16 v79, v98, s0, v44
	v_fma_f16 v44, v98, s5, v44
	;; [unrolled: 1-line block ×6, first 2 shown]
	v_pack_b32_f16 v78, v83, v79
	v_pack_b32_f16 v43, v43, v44
	ds_write2_b32 v6, v78, v43 offset0:20 offset1:30
	v_fma_f16 v43, v87, s5, v86
	v_fma_f16 v43, v94, s6, v43
	;; [unrolled: 1-line block ×6, first 2 shown]
	v_pack_b32_f16 v1, v1, v2
	ds_write_b32 v6, v1 offset:160
	v_sub_f16_e32 v1, v71, v73
	v_sub_f16_e32 v2, v77, v75
	v_add_f16_e32 v1, v1, v2
	v_sub_f16_e32 v2, v69, v70
	v_sub_f16_e32 v6, v74, v72
	v_add_f16_e32 v2, v2, v6
	v_lshlrev_b32_e32 v6, 2, v46
	v_mul_u32_u24_e32 v43, 0xc8, v45
	v_lshrrev_b32_e32 v44, 16, v92
	v_add3_u32 v6, 0, v43, v6
	v_add_f16_e32 v43, v92, v71
	v_add_f16_e32 v45, v44, v69
	;; [unrolled: 1-line block ×8, first 2 shown]
	v_pack_b32_f16 v43, v43, v45
	v_add_f16_e32 v45, v73, v75
	v_add_f16_e32 v80, v70, v72
	v_fma_f16 v45, v45, -0.5, v92
	v_sub_f16_e32 v46, v69, v74
	v_fma_f16 v80, v80, -0.5, v44
	v_sub_f16_e32 v81, v71, v77
	v_fma_f16 v78, v46, s0, v45
	v_sub_f16_e32 v79, v70, v72
	v_fma_f16 v82, v81, s5, v80
	;; [unrolled: 2-line block ×3, first 2 shown]
	v_fma_f16 v82, v83, s6, v82
	v_fma_f16 v78, v1, s4, v78
	v_fma_f16 v82, v2, s4, v82
	v_pack_b32_f16 v78, v78, v82
	ds_write2_b32 v6, v43, v78 offset1:10
	v_add_f16_e32 v43, v71, v77
	v_fma_f16 v43, v43, -0.5, v92
	v_sub_f16_e32 v71, v73, v71
	v_sub_f16_e32 v73, v75, v77
	v_add_f16_e32 v71, v71, v73
	v_fma_f16 v73, v79, s5, v43
	v_fma_f16 v43, v79, s0, v43
	;; [unrolled: 1-line block ×6, first 2 shown]
	v_add_f16_e32 v71, v69, v74
	v_fma_f16 v44, v71, -0.5, v44
	v_sub_f16_e32 v69, v70, v69
	v_sub_f16_e32 v70, v72, v74
	v_add_f16_e32 v69, v69, v70
	v_fma_f16 v70, v83, s0, v44
	v_fma_f16 v44, v83, s5, v44
	;; [unrolled: 1-line block ×6, first 2 shown]
	v_pack_b32_f16 v69, v73, v70
	v_pack_b32_f16 v43, v43, v44
	ds_write2_b32 v6, v69, v43 offset0:20 offset1:30
	v_fma_f16 v43, v46, s5, v45
	v_fma_f16 v43, v79, s6, v43
	;; [unrolled: 1-line block ×6, first 2 shown]
	v_pack_b32_f16 v1, v1, v2
	ds_write_b32 v6, v1 offset:160
	v_sub_f16_e32 v1, v62, v66
	v_sub_f16_e32 v2, v68, v67
	v_add_f16_e32 v1, v1, v2
	v_sub_f16_e32 v2, v61, v63
	v_sub_f16_e32 v6, v65, v64
	v_add_f16_e32 v2, v2, v6
	v_lshlrev_b32_e32 v6, 2, v42
	v_lshrrev_b32_e32 v42, 16, v76
	v_add3_u32 v6, 0, v29, v6
	v_add_f16_e32 v29, v76, v62
	v_add_f16_e32 v43, v42, v61
	;; [unrolled: 1-line block ×8, first 2 shown]
	v_pack_b32_f16 v29, v29, v43
	v_add_f16_e32 v43, v66, v67
	v_add_f16_e32 v69, v63, v64
	v_fma_f16 v43, v43, -0.5, v76
	v_sub_f16_e32 v44, v61, v65
	v_fma_f16 v69, v69, -0.5, v42
	v_sub_f16_e32 v70, v62, v68
	v_fma_f16 v45, v44, s0, v43
	v_sub_f16_e32 v46, v63, v64
	v_fma_f16 v71, v70, s5, v69
	;; [unrolled: 2-line block ×3, first 2 shown]
	v_fma_f16 v71, v72, s6, v71
	v_fma_f16 v45, v1, s4, v45
	;; [unrolled: 1-line block ×3, first 2 shown]
	v_pack_b32_f16 v45, v45, v71
	ds_write2_b32 v6, v29, v45 offset1:10
	v_add_f16_e32 v29, v62, v68
	v_fma_f16 v29, v29, -0.5, v76
	v_sub_f16_e32 v45, v66, v62
	v_sub_f16_e32 v62, v67, v68
	v_add_f16_e32 v45, v45, v62
	v_fma_f16 v62, v46, s5, v29
	v_fma_f16 v29, v46, s0, v29
	;; [unrolled: 1-line block ×6, first 2 shown]
	v_add_f16_e32 v45, v61, v65
	v_fma_f16 v42, v45, -0.5, v42
	v_sub_f16_e32 v45, v63, v61
	v_sub_f16_e32 v61, v64, v65
	v_add_f16_e32 v45, v45, v61
	v_fma_f16 v61, v72, s0, v42
	v_fma_f16 v42, v72, s5, v42
	v_fma_f16 v61, v70, s6, v61
	v_fma_f16 v42, v70, s1, v42
	v_fma_f16 v61, v45, s4, v61
	v_fma_f16 v42, v45, s4, v42
	v_pack_b32_f16 v45, v62, v61
	v_pack_b32_f16 v29, v29, v42
	ds_write2_b32 v6, v45, v29 offset0:20 offset1:30
	v_fma_f16 v29, v44, s5, v43
	v_fma_f16 v29, v46, s6, v29
	;; [unrolled: 1-line block ×6, first 2 shown]
	v_pack_b32_f16 v1, v1, v2
	ds_write_b32 v6, v1 offset:160
	v_sub_f16_e32 v1, v54, v56
	v_sub_f16_e32 v2, v59, v58
	v_add_f16_e32 v1, v1, v2
	v_sub_f16_e32 v2, v52, v53
	v_sub_f16_e32 v6, v57, v55
	v_add_f16_e32 v2, v2, v6
	v_lshlrev_b32_e32 v6, 2, v48
	v_mul_u32_u24_e32 v29, 0xc8, v47
	v_lshrrev_b32_e32 v42, 16, v60
	v_add3_u32 v6, 0, v29, v6
	v_add_f16_e32 v29, v60, v54
	v_add_f16_e32 v43, v42, v52
	;; [unrolled: 1-line block ×8, first 2 shown]
	v_pack_b32_f16 v29, v29, v43
	v_add_f16_e32 v43, v56, v58
	v_add_f16_e32 v47, v53, v55
	v_fma_f16 v43, v43, -0.5, v60
	v_sub_f16_e32 v44, v52, v57
	v_fma_f16 v47, v47, -0.5, v42
	v_sub_f16_e32 v48, v54, v59
	v_fma_f16 v45, v44, s0, v43
	v_sub_f16_e32 v46, v53, v55
	v_fma_f16 v61, v48, s5, v47
	;; [unrolled: 2-line block ×3, first 2 shown]
	v_fma_f16 v61, v62, s6, v61
	v_fma_f16 v45, v1, s4, v45
	;; [unrolled: 1-line block ×3, first 2 shown]
	v_pack_b32_f16 v45, v45, v61
	ds_write2_b32 v6, v29, v45 offset1:10
	v_add_f16_e32 v29, v54, v59
	v_fma_f16 v29, v29, -0.5, v60
	v_sub_f16_e32 v45, v56, v54
	v_sub_f16_e32 v54, v58, v59
	v_add_f16_e32 v45, v45, v54
	v_fma_f16 v54, v46, s5, v29
	v_fma_f16 v29, v46, s0, v29
	;; [unrolled: 1-line block ×6, first 2 shown]
	v_add_f16_e32 v45, v52, v57
	v_fma_f16 v42, v45, -0.5, v42
	v_sub_f16_e32 v45, v53, v52
	v_sub_f16_e32 v52, v55, v57
	v_add_f16_e32 v45, v45, v52
	v_fma_f16 v52, v62, s0, v42
	v_fma_f16 v42, v62, s5, v42
	;; [unrolled: 1-line block ×6, first 2 shown]
	v_pack_b32_f16 v45, v54, v52
	v_pack_b32_f16 v29, v29, v42
	ds_write2_b32 v6, v45, v29 offset0:20 offset1:30
	v_fma_f16 v29, v44, s5, v43
	v_fma_f16 v29, v46, s6, v29
	;; [unrolled: 1-line block ×6, first 2 shown]
	v_pack_b32_f16 v1, v1, v2
	ds_write_b32 v6, v1 offset:160
	v_sub_f16_e32 v1, v91, v88
	v_sub_f16_e32 v2, v100, v90
	v_add_f16_e32 v1, v1, v2
	v_sub_f16_e32 v2, v3, v4
	v_sub_f16_e32 v6, v7, v5
	v_add_f16_e32 v2, v2, v6
	v_lshlrev_b32_e32 v6, 2, v50
	v_mul_u32_u24_e32 v29, 0xc8, v49
	v_lshrrev_b32_e32 v42, 16, v51
	v_add3_u32 v6, 0, v29, v6
	v_add_f16_e32 v29, v51, v91
	v_add_f16_e32 v43, v42, v3
	;; [unrolled: 1-line block ×8, first 2 shown]
	v_pack_b32_f16 v29, v29, v43
	v_add_f16_e32 v43, v88, v90
	v_add_f16_e32 v47, v4, v5
	v_fma_f16 v43, v43, -0.5, v51
	v_sub_f16_e32 v44, v3, v7
	v_fma_f16 v47, v47, -0.5, v42
	v_sub_f16_e32 v48, v91, v100
	v_fma_f16 v45, v44, s0, v43
	v_sub_f16_e32 v46, v4, v5
	v_fma_f16 v49, v48, s5, v47
	;; [unrolled: 2-line block ×3, first 2 shown]
	v_fma_f16 v49, v50, s6, v49
	v_fma_f16 v45, v1, s4, v45
	;; [unrolled: 1-line block ×3, first 2 shown]
	v_pack_b32_f16 v45, v45, v49
	ds_write2_b32 v6, v29, v45 offset1:10
	v_add_f16_e32 v29, v91, v100
	v_fma_f16 v29, v29, -0.5, v51
	v_sub_f16_e32 v45, v88, v91
	v_sub_f16_e32 v49, v90, v100
	v_add_f16_e32 v45, v45, v49
	v_fma_f16 v49, v46, s5, v29
	v_fma_f16 v29, v46, s0, v29
	;; [unrolled: 1-line block ×6, first 2 shown]
	v_add_f16_e32 v45, v3, v7
	v_fma_f16 v42, v45, -0.5, v42
	v_sub_f16_e32 v3, v4, v3
	v_sub_f16_e32 v4, v5, v7
	v_add_f16_e32 v3, v3, v4
	v_fma_f16 v4, v50, s0, v42
	v_fma_f16 v5, v50, s5, v42
	;; [unrolled: 1-line block ×6, first 2 shown]
	v_pack_b32_f16 v4, v49, v4
	v_pack_b32_f16 v3, v29, v3
	ds_write2_b32 v6, v4, v3 offset0:20 offset1:30
	v_fma_f16 v3, v44, s5, v43
	v_fma_f16 v3, v46, s6, v3
	;; [unrolled: 1-line block ×6, first 2 shown]
	v_pack_b32_f16 v1, v1, v2
	ds_write_b32 v6, v1 offset:160
	v_mov_b32_e32 v1, 41
	v_mul_lo_u16_sdwa v1, v8, v1 dst_sel:DWORD dst_unused:UNUSED_PAD src0_sel:BYTE_0 src1_sel:DWORD
	v_lshrrev_b16_e32 v1, 11, v1
	v_mul_lo_u16_e32 v2, 50, v1
	v_sub_u16_e32 v2, v8, v2
	v_mov_b32_e32 v3, 3
	v_lshlrev_b32_sdwa v3, v3, v2 dst_sel:DWORD dst_unused:UNUSED_PAD src0_sel:DWORD src1_sel:BYTE_0
	s_waitcnt lgkmcnt(0)
	s_barrier
	global_load_dwordx2 v[42:43], v3, s[8:9] offset:160
	v_lshrrev_b16_e32 v3, 1, v12
	v_mul_u32_u24_e32 v3, 0x147b, v3
	v_lshrrev_b32_e32 v51, 17, v3
	v_mul_lo_u16_e32 v3, 50, v51
	v_sub_u16_e32 v52, v12, v3
	v_lshlrev_b32_e32 v3, 3, v52
	global_load_dwordx2 v[64:65], v3, s[8:9] offset:160
	v_lshrrev_b16_e32 v4, 1, v25
	v_mul_u32_u24_e32 v3, 0x147b, v4
	v_lshrrev_b32_e32 v7, 17, v3
	v_mul_lo_u16_e32 v3, 50, v7
	v_sub_u16_e32 v45, v25, v3
	v_lshlrev_b32_e32 v3, 3, v45
	v_lshrrev_b16_e32 v5, 1, v16
	global_load_dwordx2 v[66:67], v3, s[8:9] offset:160
	v_mul_u32_u24_e32 v3, 0x147b, v5
	v_lshrrev_b32_e32 v3, 17, v3
	v_mul_lo_u16_e32 v6, 50, v3
	v_sub_u16_e32 v6, v16, v6
	v_lshlrev_b32_e32 v29, 3, v6
	global_load_dwordx2 v[68:69], v29, s[8:9] offset:160
	ds_read2_b32 v[61:62], v26 offset0:70 offset1:205
	v_lshrrev_b16_e32 v47, 1, v18
	v_mul_u32_u24_e32 v46, 0x147b, v47
	v_lshrrev_b32_e32 v53, 17, v46
	v_mul_lo_u16_e32 v46, 50, v53
	v_sub_u16_e32 v54, v18, v46
	s_waitcnt lgkmcnt(0)
	v_lshrrev_b32_e32 v29, 16, v61
	v_lshlrev_b32_e32 v46, 3, v54
	ds_read2_b32 v[72:73], v28 offset0:12 offset1:147
	v_lshrrev_b16_e32 v48, 1, v22
	global_load_dwordx2 v[70:71], v46, s[8:9] offset:160
	v_lshrrev_b16_e32 v49, 1, v20
	v_lshrrev_b16_e32 v50, 1, v24
	ds_read_b32 v105, v30
	s_movk_i32 s4, 0x3aee
	s_mov_b32 s5, 0xbaee
	v_lshlrev_b32_sdwa v0, v0, v2 dst_sel:DWORD dst_unused:UNUSED_PAD src0_sel:DWORD src1_sel:BYTE_0
	v_mul_u32_u24_e32 v1, 0x258, v1
	s_waitcnt lgkmcnt(0)
	v_lshrrev_b32_e32 v113, 16, v105
	v_add3_u32 v0, 0, v1, v0
	v_mul_u32_u24_e32 v51, 0x258, v51
	v_lshlrev_b32_e32 v52, 2, v52
	v_add3_u32 v51, 0, v51, v52
	v_mul_u32_u24_e32 v7, 0x258, v7
	v_lshlrev_b32_e32 v45, 2, v45
	;; [unrolled: 3-line block ×3, first 2 shown]
	v_add3_u32 v3, 0, v3, v6
	v_mul_u32_u24_e32 v4, 0xda75, v4
	v_mul_u32_u24_e32 v47, 0xda75, v47
	s_movk_i32 s6, 0x1000
	s_waitcnt vmcnt(4)
	v_mul_f16_sdwa v44, v42, v61 dst_sel:DWORD dst_unused:UNUSED_PAD src0_sel:WORD_1 src1_sel:DWORD
	v_fma_f16 v84, v42, v29, v44
	v_mul_u32_u24_e32 v44, 0x147b, v48
	v_lshrrev_b32_e32 v59, 17, v44
	v_mul_lo_u16_e32 v44, 50, v59
	v_mul_f16_sdwa v29, v42, v29 dst_sel:DWORD dst_unused:UNUSED_PAD src0_sel:WORD_1 src1_sel:DWORD
	v_sub_u16_e32 v60, v22, v44
	v_lshlrev_b32_e32 v44, 3, v60
	v_fma_f16 v85, v42, v61, -v29
	v_lshrrev_b32_e32 v29, 16, v72
	v_mul_f16_sdwa v42, v43, v72 dst_sel:DWORD dst_unused:UNUSED_PAD src0_sel:WORD_1 src1_sel:DWORD
	global_load_dwordx2 v[74:75], v44, s[8:9] offset:160
	v_fma_f16 v86, v43, v29, v42
	v_mul_u32_u24_e32 v42, 0x147b, v49
	v_lshrrev_b32_e32 v57, 17, v42
	v_mul_lo_u16_e32 v42, 50, v57
	v_mul_f16_sdwa v29, v43, v29 dst_sel:DWORD dst_unused:UNUSED_PAD src0_sel:WORD_1 src1_sel:DWORD
	v_sub_u16_e32 v58, v20, v42
	v_lshlrev_b32_e32 v42, 3, v58
	global_load_dwordx2 v[76:77], v42, s[8:9] offset:160
	v_fma_f16 v87, v43, v72, -v29
	v_lshrrev_b32_e32 v29, 16, v62
	s_waitcnt vmcnt(5)
	v_mul_f16_sdwa v44, v29, v64 dst_sel:DWORD dst_unused:UNUSED_PAD src0_sel:DWORD src1_sel:WORD_1
	v_fma_f16 v88, v62, v64, -v44
	v_mul_f16_sdwa v44, v62, v64 dst_sel:DWORD dst_unused:UNUSED_PAD src0_sel:DWORD src1_sel:WORD_1
	v_fma_f16 v89, v29, v64, v44
	v_lshrrev_b16_e32 v29, 1, v15
	v_mul_u32_u24_e32 v42, 0x147b, v50
	v_mul_u32_u24_e32 v61, 0x147b, v29
	v_lshrrev_b32_e32 v55, 17, v42
	v_lshrrev_b32_e32 v61, 17, v61
	v_mul_lo_u16_e32 v42, 50, v55
	v_mul_lo_u16_e32 v62, 50, v61
	v_sub_u16_e32 v56, v24, v42
	v_sub_u16_e32 v62, v15, v62
	v_lshlrev_b32_e32 v42, 3, v56
	v_lshlrev_b32_e32 v63, 3, v62
	global_load_dwordx2 v[78:79], v63, s[8:9] offset:160
	v_lshrrev_b32_e32 v44, 16, v73
	global_load_dwordx2 v[42:43], v42, s[8:9] offset:160
	v_mul_f16_sdwa v46, v44, v65 dst_sel:DWORD dst_unused:UNUSED_PAD src0_sel:DWORD src1_sel:WORD_1
	v_fma_f16 v90, v73, v65, -v46
	v_lshrrev_b16_e32 v46, 1, v14
	v_mul_u32_u24_e32 v63, 0x147b, v46
	v_lshrrev_b32_e32 v63, 17, v63
	v_mul_lo_u16_e32 v64, 50, v63
	v_sub_u16_e32 v64, v14, v64
	v_lshlrev_b32_e32 v80, 3, v64
	global_load_dwordx2 v[80:81], v80, s[8:9] offset:160
	v_mul_f16_sdwa v82, v73, v65 dst_sel:DWORD dst_unused:UNUSED_PAD src0_sel:DWORD src1_sel:WORD_1
	ds_read2_b32 v[72:73], v19 offset0:84 offset1:219
	v_fma_f16 v91, v44, v65, v82
	ds_read2_b32 v[82:83], v35 offset0:26 offset1:161
	v_add_f16_e32 v114, v113, v84
	v_add_f16_e32 v114, v114, v86
	s_waitcnt lgkmcnt(1)
	v_lshrrev_b32_e32 v44, 16, v72
	s_waitcnt vmcnt(7)
	v_mul_f16_sdwa v65, v72, v66 dst_sel:DWORD dst_unused:UNUSED_PAD src0_sel:DWORD src1_sel:WORD_1
	v_fma_f16 v92, v44, v66, v65
	v_mul_f16_sdwa v44, v44, v66 dst_sel:DWORD dst_unused:UNUSED_PAD src0_sel:DWORD src1_sel:WORD_1
	v_fma_f16 v72, v72, v66, -v44
	s_waitcnt lgkmcnt(0)
	v_lshrrev_b32_e32 v44, 16, v82
	v_mul_f16_sdwa v65, v82, v67 dst_sel:DWORD dst_unused:UNUSED_PAD src0_sel:DWORD src1_sel:WORD_1
	v_fma_f16 v93, v44, v67, v65
	v_mul_f16_sdwa v44, v44, v67 dst_sel:DWORD dst_unused:UNUSED_PAD src0_sel:DWORD src1_sel:WORD_1
	v_fma_f16 v82, v82, v67, -v44
	v_lshrrev_b32_e32 v44, 16, v73
	s_waitcnt vmcnt(6)
	v_mul_f16_sdwa v65, v44, v68 dst_sel:DWORD dst_unused:UNUSED_PAD src0_sel:DWORD src1_sel:WORD_1
	v_fma_f16 v94, v73, v68, -v65
	v_mul_f16_sdwa v65, v73, v68 dst_sel:DWORD dst_unused:UNUSED_PAD src0_sel:DWORD src1_sel:WORD_1
	v_fma_f16 v73, v44, v68, v65
	v_lshrrev_b32_e32 v44, 16, v83
	ds_read2_b32 v[65:66], v31 offset0:98 offset1:233
	v_mul_f16_sdwa v67, v44, v69 dst_sel:DWORD dst_unused:UNUSED_PAD src0_sel:DWORD src1_sel:WORD_1
	v_fma_f16 v95, v83, v69, -v67
	v_mul_f16_sdwa v67, v83, v69 dst_sel:DWORD dst_unused:UNUSED_PAD src0_sel:DWORD src1_sel:WORD_1
	v_fma_f16 v69, v44, v69, v67
	ds_read2_b32 v[67:68], v17 offset0:40 offset1:175
	s_waitcnt lgkmcnt(1)
	v_lshrrev_b32_e32 v44, 16, v65
	s_waitcnt vmcnt(5)
	v_mul_f16_sdwa v83, v65, v70 dst_sel:DWORD dst_unused:UNUSED_PAD src0_sel:DWORD src1_sel:WORD_1
	v_fma_f16 v83, v44, v70, v83
	v_mul_f16_sdwa v44, v44, v70 dst_sel:DWORD dst_unused:UNUSED_PAD src0_sel:DWORD src1_sel:WORD_1
	v_fma_f16 v70, v65, v70, -v44
	s_waitcnt lgkmcnt(0)
	v_lshrrev_b32_e32 v44, 16, v67
	v_mul_f16_sdwa v65, v67, v71 dst_sel:DWORD dst_unused:UNUSED_PAD src0_sel:DWORD src1_sel:WORD_1
	v_fma_f16 v96, v44, v71, v65
	v_mul_f16_sdwa v44, v44, v71 dst_sel:DWORD dst_unused:UNUSED_PAD src0_sel:DWORD src1_sel:WORD_1
	v_fma_f16 v71, v67, v71, -v44
	v_lshrrev_b32_e32 v44, 16, v66
	v_sub_f16_e32 v115, v84, v86
	v_add_f16_e32 v84, v84, v86
	v_add_f16_e32 v86, v85, v87
	s_waitcnt vmcnt(4)
	v_mul_f16_sdwa v65, v44, v74 dst_sel:DWORD dst_unused:UNUSED_PAD src0_sel:DWORD src1_sel:WORD_1
	v_fma_f16 v97, v66, v74, -v65
	v_mul_f16_sdwa v65, v66, v74 dst_sel:DWORD dst_unused:UNUSED_PAD src0_sel:DWORD src1_sel:WORD_1
	v_fma_f16 v74, v44, v74, v65
	v_lshrrev_b32_e32 v44, 16, v68
	ds_read2_b32 v[65:66], v34 offset0:112 offset1:247
	v_mul_f16_sdwa v67, v44, v75 dst_sel:DWORD dst_unused:UNUSED_PAD src0_sel:DWORD src1_sel:WORD_1
	v_fma_f16 v98, v68, v75, -v67
	v_mul_f16_sdwa v67, v68, v75 dst_sel:DWORD dst_unused:UNUSED_PAD src0_sel:DWORD src1_sel:WORD_1
	v_fma_f16 v75, v44, v75, v67
	ds_read2_b32 v[67:68], v23 offset0:54 offset1:189
	s_waitcnt lgkmcnt(1)
	v_lshrrev_b32_e32 v44, 16, v65
	s_waitcnt vmcnt(3)
	v_mul_f16_sdwa v99, v65, v76 dst_sel:DWORD dst_unused:UNUSED_PAD src0_sel:DWORD src1_sel:WORD_1
	v_fma_f16 v99, v44, v76, v99
	v_mul_f16_sdwa v44, v44, v76 dst_sel:DWORD dst_unused:UNUSED_PAD src0_sel:DWORD src1_sel:WORD_1
	v_fma_f16 v76, v65, v76, -v44
	s_waitcnt lgkmcnt(0)
	v_lshrrev_b32_e32 v44, 16, v67
	v_mul_f16_sdwa v65, v67, v77 dst_sel:DWORD dst_unused:UNUSED_PAD src0_sel:DWORD src1_sel:WORD_1
	v_fma_f16 v100, v44, v77, v65
	v_mul_f16_sdwa v44, v44, v77 dst_sel:DWORD dst_unused:UNUSED_PAD src0_sel:DWORD src1_sel:WORD_1
	v_fma_f16 v67, v67, v77, -v44
	v_lshrrev_b32_e32 v44, 16, v66
	v_fma_f16 v84, v84, -0.5, v113
	v_fma_f16 v86, v86, -0.5, v105
	v_add_f16_e32 v105, v105, v85
	v_sub_f16_e32 v85, v85, v87
	v_add_f16_e32 v105, v105, v87
	v_fma_f16 v2, v115, s4, v86
	s_waitcnt vmcnt(1)
	v_mul_f16_sdwa v65, v44, v42 dst_sel:DWORD dst_unused:UNUSED_PAD src0_sel:DWORD src1_sel:WORD_1
	v_fma_f16 v77, v66, v42, -v65
	v_mul_f16_sdwa v65, v66, v42 dst_sel:DWORD dst_unused:UNUSED_PAD src0_sel:DWORD src1_sel:WORD_1
	v_fma_f16 v101, v44, v42, v65
	v_lshrrev_b32_e32 v42, 16, v68
	ds_read2_b32 v[65:66], v13 offset0:62 offset1:197
	v_mul_f16_sdwa v44, v42, v43 dst_sel:DWORD dst_unused:UNUSED_PAD src0_sel:DWORD src1_sel:WORD_1
	v_fma_f16 v102, v68, v43, -v44
	v_mul_f16_sdwa v44, v68, v43 dst_sel:DWORD dst_unused:UNUSED_PAD src0_sel:DWORD src1_sel:WORD_1
	v_fma_f16 v68, v42, v43, v44
	ds_read2_b32 v[42:43], v33 offset0:68 offset1:203
	s_waitcnt lgkmcnt(1)
	v_lshrrev_b32_e32 v44, 16, v65
	v_mul_f16_sdwa v103, v65, v78 dst_sel:DWORD dst_unused:UNUSED_PAD src0_sel:DWORD src1_sel:WORD_1
	v_fma_f16 v103, v44, v78, v103
	v_mul_f16_sdwa v44, v44, v78 dst_sel:DWORD dst_unused:UNUSED_PAD src0_sel:DWORD src1_sel:WORD_1
	v_fma_f16 v65, v65, v78, -v44
	s_waitcnt lgkmcnt(0)
	v_lshrrev_b32_e32 v44, 16, v42
	v_mul_f16_sdwa v78, v42, v79 dst_sel:DWORD dst_unused:UNUSED_PAD src0_sel:DWORD src1_sel:WORD_1
	v_fma_f16 v78, v44, v79, v78
	v_mul_f16_sdwa v44, v44, v79 dst_sel:DWORD dst_unused:UNUSED_PAD src0_sel:DWORD src1_sel:WORD_1
	v_fma_f16 v79, v42, v79, -v44
	v_lshrrev_b32_e32 v42, 16, v66
	s_waitcnt vmcnt(0)
	v_mul_f16_sdwa v44, v42, v80 dst_sel:DWORD dst_unused:UNUSED_PAD src0_sel:DWORD src1_sel:WORD_1
	v_fma_f16 v104, v66, v80, -v44
	v_mul_f16_sdwa v44, v66, v80 dst_sel:DWORD dst_unused:UNUSED_PAD src0_sel:DWORD src1_sel:WORD_1
	v_fma_f16 v66, v42, v80, v44
	v_lshrrev_b32_e32 v42, 16, v43
	v_mul_f16_sdwa v44, v42, v81 dst_sel:DWORD dst_unused:UNUSED_PAD src0_sel:DWORD src1_sel:WORD_1
	v_fma_f16 v80, v43, v81, -v44
	v_mul_f16_sdwa v43, v43, v81 dst_sel:DWORD dst_unused:UNUSED_PAD src0_sel:DWORD src1_sel:WORD_1
	v_fma_f16 v87, v85, s5, v84
	v_fma_f16 v81, v42, v81, v43
	v_lshl_add_u32 v44, v24, 2, 0
	v_lshl_add_u32 v43, v15, 2, 0
	;; [unrolled: 1-line block ×3, first 2 shown]
	ds_read_b32 v106, v37
	ds_read_b32 v107, v44
	ds_read_b32 v108, v43
	ds_read_b32 v109, v42
	ds_read_b32 v110, v36
	ds_read_b32 v111, v38
	ds_read_b32 v112, v39
	v_pack_b32_f16 v1, v105, v114
	v_pack_b32_f16 v2, v2, v87
	ds_read_b32 v87, v41
	ds_read_b32 v105, v40
	s_waitcnt lgkmcnt(0)
	s_barrier
	ds_write2_b32 v0, v1, v2 offset1:50
	v_fma_f16 v1, v115, s5, v86
	v_fma_f16 v2, v85, s4, v84
	v_pack_b32_f16 v1, v1, v2
	ds_write_b32 v0, v1 offset:400
	v_lshrrev_b32_e32 v0, 16, v87
	v_add_f16_e32 v84, v89, v91
	v_add_f16_e32 v1, v0, v89
	v_fma_f16 v0, v84, -0.5, v0
	v_add_f16_e32 v84, v88, v90
	v_add_f16_e32 v85, v87, v88
	v_add_f16_e32 v1, v1, v91
	v_sub_f16_e32 v2, v89, v91
	v_fma_f16 v84, v84, -0.5, v87
	v_add_f16_e32 v85, v85, v90
	v_sub_f16_e32 v86, v88, v90
	v_pack_b32_f16 v1, v85, v1
	v_fma_f16 v52, v2, s4, v84
	v_fma_f16 v85, v86, s5, v0
	v_pack_b32_f16 v52, v52, v85
	ds_write2_b32 v51, v1, v52 offset1:50
	v_fma_f16 v1, v2, s5, v84
	v_fma_f16 v0, v86, s4, v0
	v_pack_b32_f16 v0, v1, v0
	ds_write_b32 v51, v0 offset:400
	v_lshrrev_b32_e32 v0, 16, v105
	v_add_f16_e32 v51, v92, v93
	v_add_f16_e32 v1, v0, v92
	v_fma_f16 v0, v51, -0.5, v0
	v_add_f16_e32 v51, v72, v82
	v_add_f16_e32 v52, v105, v72
	v_add_f16_e32 v1, v1, v93
	v_sub_f16_e32 v2, v92, v93
	v_fma_f16 v51, v51, -0.5, v105
	v_add_f16_e32 v52, v52, v82
	v_sub_f16_e32 v72, v72, v82
	v_pack_b32_f16 v1, v52, v1
	v_fma_f16 v45, v2, s4, v51
	v_fma_f16 v52, v72, s5, v0
	v_pack_b32_f16 v45, v45, v52
	;; [unrolled: 20-line block ×3, first 2 shown]
	ds_write2_b32 v3, v1, v6 offset1:50
	v_fma_f16 v1, v2, s5, v7
	v_fma_f16 v0, v51, s4, v0
	v_pack_b32_f16 v0, v1, v0
	ds_write_b32 v3, v0 offset:400
	v_lshrrev_b32_e32 v0, 16, v111
	v_add_f16_e32 v3, v83, v96
	v_add_f16_e32 v1, v0, v83
	v_fma_f16 v0, v3, -0.5, v0
	v_add_f16_e32 v3, v70, v71
	v_add_f16_e32 v6, v111, v70
	v_add_f16_e32 v1, v1, v96
	v_sub_f16_e32 v2, v83, v96
	v_fma_f16 v3, v3, -0.5, v111
	v_add_f16_e32 v6, v6, v71
	v_sub_f16_e32 v7, v70, v71
	v_mul_u32_u24_e32 v45, 0x258, v53
	v_lshlrev_b32_e32 v51, 2, v54
	v_add3_u32 v45, 0, v45, v51
	v_pack_b32_f16 v1, v6, v1
	v_fma_f16 v6, v2, s4, v3
	v_fma_f16 v51, v7, s5, v0
	v_pack_b32_f16 v6, v6, v51
	ds_write2_b32 v45, v1, v6 offset1:50
	v_fma_f16 v1, v2, s5, v3
	v_fma_f16 v0, v7, s4, v0
	v_pack_b32_f16 v0, v1, v0
	ds_write_b32 v45, v0 offset:400
	v_lshrrev_b32_e32 v0, 16, v106
	v_add_f16_e32 v3, v74, v75
	v_add_f16_e32 v1, v0, v74
	v_fma_f16 v0, v3, -0.5, v0
	v_add_f16_e32 v3, v97, v98
	v_add_f16_e32 v6, v106, v97
	v_add_f16_e32 v1, v1, v75
	v_sub_f16_e32 v2, v74, v75
	v_fma_f16 v3, v3, -0.5, v106
	v_add_f16_e32 v6, v6, v98
	v_sub_f16_e32 v7, v97, v98
	v_mul_u32_u24_e32 v45, 0x258, v59
	v_lshlrev_b32_e32 v51, 2, v60
	v_add3_u32 v45, 0, v45, v51
	v_pack_b32_f16 v1, v6, v1
	v_fma_f16 v6, v2, s4, v3
	v_fma_f16 v51, v7, s5, v0
	v_pack_b32_f16 v6, v6, v51
	;; [unrolled: 23-line block ×6, first 2 shown]
	ds_write2_b32 v45, v1, v6 offset1:50
	v_fma_f16 v1, v2, s5, v3
	v_fma_f16 v0, v7, s4, v0
	v_lshrrev_b32_e32 v53, 22, v4
	v_pack_b32_f16 v0, v1, v0
	v_mul_lo_u16_e32 v4, 0x96, v53
	ds_write_b32 v45, v0 offset:400
	v_lshlrev_b32_e32 v0, 1, v8
	v_mov_b32_e32 v1, 0
	v_sub_u16_e32 v54, v25, v4
	v_mul_u32_u24_e32 v4, 0xda75, v5
	v_lshlrev_b64 v[2:3], 2, v[0:1]
	v_lshrrev_b32_e32 v51, 22, v4
	v_mul_lo_u16_e32 v4, 0x96, v51
	v_mov_b32_e32 v45, s9
	v_add_co_u32_e64 v2, s[0:1], s8, v2
	v_sub_u16_e32 v52, v16, v4
	v_lshlrev_b32_e32 v55, 3, v54
	v_addc_co_u32_e64 v3, s[0:1], v45, v3, s[0:1]
	s_waitcnt lgkmcnt(0)
	s_barrier
	v_lshlrev_b32_e32 v56, 3, v52
	global_load_dwordx2 v[6:7], v55, s[8:9] offset:560
	global_load_dwordx2 v[4:5], v56, s[8:9] offset:560
	global_load_dwordx2 v[59:60], v[2:3], off offset:560
	v_add_u32_e32 v55, -15, v8
	v_cmp_gt_u32_e64 s[0:1], 15, v8
	v_cndmask_b32_e64 v55, v55, v12, s[0:1]
	v_lshlrev_b32_e32 v56, 1, v55
	v_mov_b32_e32 v57, v1
	v_lshlrev_b64 v[56:57], 2, v[56:57]
	ds_read2_b32 v[67:68], v26 offset0:70 offset1:205
	v_add_co_u32_e64 v56, s[0:1], s8, v56
	v_addc_co_u32_e64 v57, s[0:1], v45, v57, s[0:1]
	global_load_dwordx2 v[65:66], v[56:57], off offset:560
	s_waitcnt lgkmcnt(0)
	v_lshrrev_b32_e32 v61, 16, v67
	v_mul_u32_u24_e32 v48, 0xda75, v48
	v_lshrrev_b32_e32 v62, 22, v48
	v_mul_lo_u16_e32 v48, 0x96, v62
	ds_read2_b32 v[69:70], v28 offset0:12 offset1:147
	v_sub_u16_e32 v63, v22, v48
	v_lshlrev_b32_e32 v48, 3, v63
	global_load_dwordx2 v[73:74], v48, s[8:9] offset:560
	v_mul_u32_u24_e32 v49, 0xda75, v49
	v_mul_u32_u24_e32 v29, 0xda75, v29
	v_lshrrev_b32_e32 v29, 22, v29
	v_mul_u32_u24_e32 v46, 0xda75, v46
	v_lshrrev_b32_e32 v46, 22, v46
	v_mul_lo_u16_e32 v46, 0x96, v46
	v_sub_u16_e32 v46, v14, v46
	v_lshlrev_b32_e32 v79, 3, v46
	v_cmp_lt_u32_e64 s[0:1], 14, v8
	v_lshlrev_b32_e32 v55, 2, v55
	v_mul_u32_u24_e32 v53, 0x708, v53
	v_lshlrev_b32_e32 v54, 2, v54
	v_add3_u32 v53, 0, v53, v54
	v_mul_u32_u24_e32 v51, 0x708, v51
	v_lshlrev_b32_e32 v52, 2, v52
	v_add3_u32 v51, 0, v51, v52
	v_lshl_add_u32 v46, v46, 2, 0
	s_waitcnt vmcnt(2)
	v_mul_f16_sdwa v56, v59, v67 dst_sel:DWORD dst_unused:UNUSED_PAD src0_sel:WORD_1 src1_sel:DWORD
	v_fma_f16 v58, v59, v61, v56
	v_lshrrev_b32_e32 v56, 22, v47
	v_mul_lo_u16_e32 v47, 0x96, v56
	v_sub_u16_e32 v57, v18, v47
	v_lshlrev_b32_e32 v47, 3, v57
	global_load_dwordx2 v[71:72], v47, s[8:9] offset:560
	v_mul_f16_sdwa v47, v59, v61 dst_sel:DWORD dst_unused:UNUSED_PAD src0_sel:WORD_1 src1_sel:DWORD
	v_fma_f16 v81, v59, v67, -v47
	s_waitcnt lgkmcnt(0)
	v_lshrrev_b32_e32 v47, 16, v69
	v_mul_f16_sdwa v59, v60, v69 dst_sel:DWORD dst_unused:UNUSED_PAD src0_sel:WORD_1 src1_sel:DWORD
	v_fma_f16 v82, v60, v47, v59
	v_lshrrev_b32_e32 v59, 22, v49
	v_mul_f16_sdwa v47, v60, v47 dst_sel:DWORD dst_unused:UNUSED_PAD src0_sel:WORD_1 src1_sel:DWORD
	v_mul_lo_u16_e32 v49, 0x96, v59
	v_fma_f16 v83, v60, v69, -v47
	v_sub_u16_e32 v60, v20, v49
	v_lshlrev_b32_e32 v49, 3, v60
	ds_read_b32 v64, v37
	ds_read_b32 v48, v44
	;; [unrolled: 1-line block ×3, first 2 shown]
	global_load_dwordx2 v[75:76], v49, s[8:9] offset:560
	v_mul_u32_u24_e32 v49, 0xda75, v50
	v_lshrrev_b32_e32 v49, 22, v49
	v_mul_lo_u16_e32 v50, 0x96, v49
	v_sub_u16_e32 v50, v24, v50
	ds_read_u16 v67, v30 offset:5942
	ds_read_b32 v61, v36
	v_lshlrev_b32_e32 v69, 3, v50
	global_load_dwordx2 v[77:78], v69, s[8:9] offset:560
	ds_read_b32 v84, v38
	ds_read_b32 v85, v39
	ds_read_b32 v86, v30
	s_waitcnt vmcnt(4) lgkmcnt(4)
	v_mul_f16_sdwa v69, v67, v65 dst_sel:DWORD dst_unused:UNUSED_PAD src0_sel:DWORD src1_sel:WORD_1
	v_fma_f16 v87, v65, v68, -v69
	v_mul_f16_sdwa v68, v65, v68 dst_sel:DWORD dst_unused:UNUSED_PAD src0_sel:WORD_1 src1_sel:DWORD
	v_fma_f16 v88, v67, v65, v68
	v_mul_lo_u16_e32 v67, 0x96, v29
	v_sub_u16_e32 v89, v15, v67
	v_lshlrev_b32_e32 v67, 3, v89
	global_load_dwordx2 v[67:68], v67, s[8:9] offset:560
	v_lshrrev_b32_e32 v65, 16, v70
	global_load_dwordx2 v[79:80], v79, s[8:9] offset:560
	v_mul_f16_sdwa v69, v65, v66 dst_sel:DWORD dst_unused:UNUSED_PAD src0_sel:DWORD src1_sel:WORD_1
	v_fma_f16 v90, v70, v66, -v69
	v_mul_f16_sdwa v91, v70, v66 dst_sel:DWORD dst_unused:UNUSED_PAD src0_sel:DWORD src1_sel:WORD_1
	ds_read2_b32 v[69:70], v19 offset0:84 offset1:219
	v_fma_f16 v91, v65, v66, v91
	ds_read2_b32 v[65:66], v35 offset0:26 offset1:161
	v_sub_f16_e32 v106, v58, v82
	v_mul_u32_u24_e32 v56, 0x708, v56
	s_waitcnt lgkmcnt(1)
	v_lshrrev_b32_e32 v92, 16, v69
	v_mul_f16_sdwa v93, v69, v6 dst_sel:DWORD dst_unused:UNUSED_PAD src0_sel:DWORD src1_sel:WORD_1
	v_fma_f16 v93, v92, v6, v93
	v_mul_f16_sdwa v92, v92, v6 dst_sel:DWORD dst_unused:UNUSED_PAD src0_sel:DWORD src1_sel:WORD_1
	v_fma_f16 v69, v69, v6, -v92
	s_waitcnt lgkmcnt(0)
	v_lshrrev_b32_e32 v6, 16, v65
	v_mul_f16_sdwa v92, v65, v7 dst_sel:DWORD dst_unused:UNUSED_PAD src0_sel:DWORD src1_sel:WORD_1
	v_fma_f16 v92, v6, v7, v92
	v_mul_f16_sdwa v6, v6, v7 dst_sel:DWORD dst_unused:UNUSED_PAD src0_sel:DWORD src1_sel:WORD_1
	v_fma_f16 v65, v65, v7, -v6
	v_lshrrev_b32_e32 v6, 16, v70
	v_mul_f16_sdwa v7, v6, v4 dst_sel:DWORD dst_unused:UNUSED_PAD src0_sel:DWORD src1_sel:WORD_1
	v_fma_f16 v94, v70, v4, -v7
	v_mul_f16_sdwa v7, v70, v4 dst_sel:DWORD dst_unused:UNUSED_PAD src0_sel:DWORD src1_sel:WORD_1
	v_fma_f16 v70, v6, v4, v7
	v_lshrrev_b32_e32 v4, 16, v66
	ds_read2_b32 v[6:7], v31 offset0:98 offset1:233
	v_mul_f16_sdwa v95, v4, v5 dst_sel:DWORD dst_unused:UNUSED_PAD src0_sel:DWORD src1_sel:WORD_1
	v_fma_f16 v95, v66, v5, -v95
	v_mul_f16_sdwa v66, v66, v5 dst_sel:DWORD dst_unused:UNUSED_PAD src0_sel:DWORD src1_sel:WORD_1
	v_fma_f16 v66, v4, v5, v66
	ds_read2_b32 v[4:5], v17 offset0:40 offset1:175
	s_waitcnt lgkmcnt(1)
	v_lshrrev_b32_e32 v96, 16, v6
	v_lshlrev_b32_e32 v57, 2, v57
	v_add3_u32 v56, 0, v56, v57
	v_mul_u32_u24_e32 v49, 0x708, v49
	v_lshlrev_b32_e32 v50, 2, v50
	v_add3_u32 v49, 0, v49, v50
	s_waitcnt vmcnt(4)
	v_mul_f16_sdwa v97, v6, v71 dst_sel:DWORD dst_unused:UNUSED_PAD src0_sel:DWORD src1_sel:WORD_1
	v_fma_f16 v97, v96, v71, v97
	v_mul_f16_sdwa v96, v96, v71 dst_sel:DWORD dst_unused:UNUSED_PAD src0_sel:DWORD src1_sel:WORD_1
	v_fma_f16 v71, v6, v71, -v96
	s_waitcnt lgkmcnt(0)
	v_lshrrev_b32_e32 v6, 16, v4
	v_mul_f16_sdwa v96, v4, v72 dst_sel:DWORD dst_unused:UNUSED_PAD src0_sel:DWORD src1_sel:WORD_1
	v_fma_f16 v96, v6, v72, v96
	v_mul_f16_sdwa v6, v6, v72 dst_sel:DWORD dst_unused:UNUSED_PAD src0_sel:DWORD src1_sel:WORD_1
	v_fma_f16 v72, v4, v72, -v6
	v_lshrrev_b32_e32 v4, 16, v7
	v_mul_f16_sdwa v6, v4, v73 dst_sel:DWORD dst_unused:UNUSED_PAD src0_sel:DWORD src1_sel:WORD_1
	v_fma_f16 v98, v7, v73, -v6
	v_mul_f16_sdwa v6, v7, v73 dst_sel:DWORD dst_unused:UNUSED_PAD src0_sel:DWORD src1_sel:WORD_1
	v_fma_f16 v73, v4, v73, v6
	v_lshrrev_b32_e32 v4, 16, v5
	ds_read2_b32 v[6:7], v34 offset0:112 offset1:247
	v_mul_f16_sdwa v99, v4, v74 dst_sel:DWORD dst_unused:UNUSED_PAD src0_sel:DWORD src1_sel:WORD_1
	v_fma_f16 v99, v5, v74, -v99
	v_mul_f16_sdwa v5, v5, v74 dst_sel:DWORD dst_unused:UNUSED_PAD src0_sel:DWORD src1_sel:WORD_1
	v_fma_f16 v74, v4, v74, v5
	ds_read2_b32 v[4:5], v23 offset0:54 offset1:189
	s_waitcnt lgkmcnt(1)
	v_lshrrev_b32_e32 v100, 16, v6
	s_waitcnt vmcnt(3)
	v_mul_f16_sdwa v101, v6, v75 dst_sel:DWORD dst_unused:UNUSED_PAD src0_sel:DWORD src1_sel:WORD_1
	v_fma_f16 v101, v100, v75, v101
	v_mul_f16_sdwa v100, v100, v75 dst_sel:DWORD dst_unused:UNUSED_PAD src0_sel:DWORD src1_sel:WORD_1
	v_fma_f16 v75, v6, v75, -v100
	s_waitcnt lgkmcnt(0)
	v_lshrrev_b32_e32 v6, 16, v4
	v_mul_f16_sdwa v100, v4, v76 dst_sel:DWORD dst_unused:UNUSED_PAD src0_sel:DWORD src1_sel:WORD_1
	v_fma_f16 v100, v6, v76, v100
	v_mul_f16_sdwa v6, v6, v76 dst_sel:DWORD dst_unused:UNUSED_PAD src0_sel:DWORD src1_sel:WORD_1
	v_fma_f16 v76, v4, v76, -v6
	v_lshrrev_b32_e32 v4, 16, v7
	s_waitcnt vmcnt(2)
	v_mul_f16_sdwa v6, v4, v77 dst_sel:DWORD dst_unused:UNUSED_PAD src0_sel:DWORD src1_sel:WORD_1
	v_fma_f16 v102, v7, v77, -v6
	v_mul_f16_sdwa v6, v7, v77 dst_sel:DWORD dst_unused:UNUSED_PAD src0_sel:DWORD src1_sel:WORD_1
	v_fma_f16 v77, v4, v77, v6
	v_lshrrev_b32_e32 v4, 16, v5
	ds_read2_b32 v[6:7], v13 offset0:62 offset1:197
	v_mul_f16_sdwa v103, v4, v78 dst_sel:DWORD dst_unused:UNUSED_PAD src0_sel:DWORD src1_sel:WORD_1
	v_fma_f16 v103, v5, v78, -v103
	v_mul_f16_sdwa v5, v5, v78 dst_sel:DWORD dst_unused:UNUSED_PAD src0_sel:DWORD src1_sel:WORD_1
	v_fma_f16 v78, v4, v78, v5
	ds_read2_b32 v[4:5], v33 offset0:68 offset1:203
	s_waitcnt lgkmcnt(1)
	v_lshrrev_b32_e32 v104, 16, v6
	s_waitcnt vmcnt(1)
	v_mul_f16_sdwa v105, v6, v67 dst_sel:DWORD dst_unused:UNUSED_PAD src0_sel:DWORD src1_sel:WORD_1
	v_fma_f16 v105, v104, v67, v105
	v_mul_f16_sdwa v104, v104, v67 dst_sel:DWORD dst_unused:UNUSED_PAD src0_sel:DWORD src1_sel:WORD_1
	v_fma_f16 v6, v6, v67, -v104
	s_waitcnt lgkmcnt(0)
	v_lshrrev_b32_e32 v67, 16, v4
	v_mul_f16_sdwa v104, v4, v68 dst_sel:DWORD dst_unused:UNUSED_PAD src0_sel:DWORD src1_sel:WORD_1
	v_fma_f16 v104, v67, v68, v104
	v_mul_f16_sdwa v67, v67, v68 dst_sel:DWORD dst_unused:UNUSED_PAD src0_sel:DWORD src1_sel:WORD_1
	v_fma_f16 v4, v4, v68, -v67
	v_lshrrev_b32_e32 v67, 16, v7
	s_waitcnt vmcnt(0)
	v_mul_f16_sdwa v68, v67, v79 dst_sel:DWORD dst_unused:UNUSED_PAD src0_sel:DWORD src1_sel:WORD_1
	v_fma_f16 v68, v7, v79, -v68
	v_mul_f16_sdwa v7, v7, v79 dst_sel:DWORD dst_unused:UNUSED_PAD src0_sel:DWORD src1_sel:WORD_1
	v_fma_f16 v7, v67, v79, v7
	v_lshrrev_b32_e32 v67, 16, v5
	v_mul_f16_sdwa v79, v67, v80 dst_sel:DWORD dst_unused:UNUSED_PAD src0_sel:DWORD src1_sel:WORD_1
	v_fma_f16 v79, v5, v80, -v79
	v_mul_f16_sdwa v5, v5, v80 dst_sel:DWORD dst_unused:UNUSED_PAD src0_sel:DWORD src1_sel:WORD_1
	v_fma_f16 v5, v67, v80, v5
	v_lshrrev_b32_e32 v67, 16, v86
	v_add_f16_e32 v80, v67, v58
	v_add_f16_e32 v58, v58, v82
	;; [unrolled: 1-line block ×3, first 2 shown]
	v_fma_f16 v58, v58, -0.5, v67
	v_add_f16_e32 v67, v81, v83
	v_add_f16_e32 v82, v86, v81
	v_fma_f16 v67, v67, -0.5, v86
	v_add_f16_e32 v82, v82, v83
	v_sub_f16_e32 v81, v81, v83
	v_pack_b32_f16 v80, v82, v80
	v_fma_f16 v82, v106, s4, v67
	v_fma_f16 v83, v81, s5, v58
	v_pack_b32_f16 v82, v82, v83
	ds_read_b32 v83, v40
	ds_read_b32 v86, v41
	;; [unrolled: 1-line block ×3, first 2 shown]
	s_waitcnt lgkmcnt(0)
	s_barrier
	ds_write2_b32 v30, v80, v82 offset1:150
	v_lshrrev_b32_e32 v80, 16, v86
	v_fma_f16 v67, v106, s5, v67
	v_fma_f16 v58, v81, s4, v58
	v_add_f16_e32 v81, v80, v88
	v_sub_f16_e32 v82, v88, v91
	v_add_f16_e32 v88, v88, v91
	v_fma_f16 v80, v88, -0.5, v80
	v_add_f16_e32 v88, v87, v90
	v_pack_b32_f16 v58, v67, v58
	v_fma_f16 v88, v88, -0.5, v86
	v_add_f16_e32 v86, v86, v87
	ds_write_b32 v30, v58 offset:1200
	v_mov_b32_e32 v58, 0x708
	v_add_f16_e32 v81, v81, v91
	v_add_f16_e32 v86, v86, v90
	v_sub_f16_e32 v87, v87, v90
	v_cndmask_b32_e64 v58, 0, v58, s[0:1]
	v_add3_u32 v55, 0, v58, v55
	v_pack_b32_f16 v58, v86, v81
	v_fma_f16 v67, v82, s4, v88
	v_fma_f16 v81, v87, s5, v80
	v_pack_b32_f16 v67, v67, v81
	ds_write2_b32 v55, v58, v67 offset1:150
	v_fma_f16 v58, v82, s5, v88
	v_fma_f16 v67, v87, s4, v80
	v_pack_b32_f16 v58, v58, v67
	ds_write_b32 v55, v58 offset:1200
	v_lshrrev_b32_e32 v55, 16, v83
	v_add_f16_e32 v80, v93, v92
	v_add_f16_e32 v58, v55, v93
	v_fma_f16 v55, v80, -0.5, v55
	v_add_f16_e32 v80, v69, v65
	v_add_f16_e32 v81, v83, v69
	v_add_f16_e32 v58, v58, v92
	v_sub_f16_e32 v67, v93, v92
	v_fma_f16 v80, v80, -0.5, v83
	v_add_f16_e32 v81, v81, v65
	v_sub_f16_e32 v65, v69, v65
	v_pack_b32_f16 v54, v81, v58
	v_fma_f16 v58, v67, s4, v80
	v_fma_f16 v69, v65, s5, v55
	v_pack_b32_f16 v58, v58, v69
	ds_write2_b32 v53, v54, v58 offset1:150
	v_fma_f16 v54, v67, s5, v80
	v_fma_f16 v55, v65, s4, v55
	v_pack_b32_f16 v54, v54, v55
	ds_write_b32 v53, v54 offset:1200
	v_lshrrev_b32_e32 v53, 16, v85
	v_add_f16_e32 v58, v70, v66
	v_add_f16_e32 v54, v53, v70
	v_fma_f16 v53, v58, -0.5, v53
	v_add_f16_e32 v58, v94, v95
	v_add_f16_e32 v65, v85, v94
	v_add_f16_e32 v54, v54, v66
	v_sub_f16_e32 v55, v70, v66
	v_fma_f16 v58, v58, -0.5, v85
	v_add_f16_e32 v65, v65, v95
	v_sub_f16_e32 v66, v94, v95
	;; [unrolled: 20-line block ×4, first 2 shown]
	v_mul_u32_u24_e32 v57, 0x708, v62
	v_lshlrev_b32_e32 v58, 2, v63
	v_add3_u32 v57, 0, v57, v58
	v_pack_b32_f16 v52, v55, v52
	v_fma_f16 v55, v53, s4, v54
	v_fma_f16 v58, v56, s5, v51
	v_pack_b32_f16 v55, v55, v58
	ds_write2_b32 v57, v52, v55 offset1:150
	v_fma_f16 v52, v53, s5, v54
	v_fma_f16 v51, v56, s4, v51
	v_pack_b32_f16 v51, v52, v51
	ds_write_b32 v57, v51 offset:1200
	v_lshrrev_b32_e32 v51, 16, v61
	v_add_f16_e32 v54, v101, v100
	v_add_f16_e32 v52, v51, v101
	v_fma_f16 v51, v54, -0.5, v51
	v_add_f16_e32 v54, v75, v76
	v_add_f16_e32 v55, v61, v75
	;; [unrolled: 1-line block ×3, first 2 shown]
	v_sub_f16_e32 v53, v101, v100
	v_fma_f16 v54, v54, -0.5, v61
	v_add_f16_e32 v55, v55, v76
	v_sub_f16_e32 v56, v75, v76
	v_mul_u32_u24_e32 v57, 0x708, v59
	v_lshlrev_b32_e32 v58, 2, v60
	v_add3_u32 v57, 0, v57, v58
	v_pack_b32_f16 v52, v55, v52
	v_fma_f16 v55, v53, s4, v54
	v_fma_f16 v58, v56, s5, v51
	v_pack_b32_f16 v55, v55, v58
	ds_write2_b32 v57, v52, v55 offset1:150
	v_fma_f16 v52, v53, s5, v54
	v_fma_f16 v51, v56, s4, v51
	v_pack_b32_f16 v51, v52, v51
	ds_write_b32 v57, v51 offset:1200
	v_lshrrev_b32_e32 v51, 16, v48
	v_add_f16_e32 v54, v77, v78
	v_add_f16_e32 v52, v51, v77
	v_fma_f16 v51, v54, -0.5, v51
	v_add_f16_e32 v54, v102, v103
	v_fma_f16 v54, v54, -0.5, v48
	v_add_f16_e32 v48, v48, v102
	v_add_f16_e32 v52, v52, v78
	v_sub_f16_e32 v53, v77, v78
	v_add_f16_e32 v48, v48, v103
	v_sub_f16_e32 v55, v102, v103
	v_pack_b32_f16 v48, v48, v52
	v_fma_f16 v50, v53, s4, v54
	v_fma_f16 v52, v55, s5, v51
	v_pack_b32_f16 v50, v50, v52
	ds_write2_b32 v49, v48, v50 offset1:150
	v_fma_f16 v48, v53, s5, v54
	v_fma_f16 v50, v55, s4, v51
	v_pack_b32_f16 v48, v48, v50
	ds_write_b32 v49, v48 offset:1200
	v_lshrrev_b32_e32 v48, 16, v47
	v_add_f16_e32 v51, v105, v104
	v_add_f16_e32 v49, v48, v105
	v_fma_f16 v48, v51, -0.5, v48
	v_add_f16_e32 v51, v6, v4
	v_fma_f16 v51, v51, -0.5, v47
	v_add_f16_e32 v47, v47, v6
	v_add_f16_e32 v49, v49, v104
	v_sub_f16_e32 v50, v105, v104
	v_add_f16_e32 v47, v47, v4
	v_sub_f16_e32 v4, v6, v4
	v_mul_u32_u24_e32 v6, 0x708, v29
	v_lshlrev_b32_e32 v29, 2, v89
	v_add3_u32 v6, 0, v6, v29
	v_pack_b32_f16 v29, v47, v49
	v_fma_f16 v47, v50, s4, v51
	v_fma_f16 v49, v4, s5, v48
	v_pack_b32_f16 v47, v47, v49
	ds_write2_b32 v6, v29, v47 offset1:150
	v_fma_f16 v29, v50, s5, v51
	v_fma_f16 v4, v4, s4, v48
	v_pack_b32_f16 v4, v29, v4
	ds_write_b32 v6, v4 offset:1200
	v_lshrrev_b32_e32 v4, 16, v107
	v_add_f16_e32 v6, v4, v7
	v_add_f16_e32 v6, v6, v5
	v_sub_f16_e32 v29, v7, v5
	v_add_f16_e32 v5, v7, v5
	v_fma_f16 v4, v5, -0.5, v4
	v_add_f16_e32 v5, v68, v79
	v_add_f16_e32 v7, v107, v68
	v_fma_f16 v5, v5, -0.5, v107
	v_add_f16_e32 v7, v7, v79
	v_sub_f16_e32 v47, v68, v79
	v_pack_b32_f16 v6, v7, v6
	v_fma_f16 v7, v29, s4, v5
	v_fma_f16 v48, v47, s5, v4
	;; [unrolled: 1-line block ×4, first 2 shown]
	v_pack_b32_f16 v7, v7, v48
	v_add_u32_e32 v48, 0x3800, v46
	v_pack_b32_f16 v4, v5, v4
	ds_write2_b32 v48, v6, v7 offset0:16 offset1:166
	ds_write_b32 v46, v4 offset:15600
	s_waitcnt lgkmcnt(0)
	s_barrier
	global_load_dwordx2 v[46:47], v[2:3], off offset:1760
	v_lshlrev_b32_e32 v4, 1, v12
	v_mov_b32_e32 v5, v1
	v_lshlrev_b64 v[4:5], 2, v[4:5]
	v_lshlrev_b32_e32 v6, 1, v25
	v_add_co_u32_e64 v4, s[0:1], s8, v4
	v_addc_co_u32_e64 v5, s[0:1], v45, v5, s[0:1]
	global_load_dwordx2 v[53:54], v[4:5], off offset:1760
	v_mov_b32_e32 v7, v1
	v_lshlrev_b64 v[6:7], 2, v[6:7]
	v_subrev_u32_e32 v29, 45, v8
	v_add_co_u32_e64 v6, s[0:1], s8, v6
	v_addc_co_u32_e64 v7, s[0:1], v45, v7, s[0:1]
	v_cmp_gt_u32_e64 s[0:1], 45, v8
	v_cndmask_b32_e64 v29, v29, v16, s[0:1]
	global_load_dwordx2 v[55:56], v[6:7], off offset:1760
	v_lshlrev_b32_e32 v48, 1, v29
	v_mov_b32_e32 v49, v1
	v_lshlrev_b64 v[48:49], 2, v[48:49]
	ds_read2_b32 v[57:58], v26 offset0:70 offset1:205
	v_add_co_u32_e64 v48, s[0:1], s8, v48
	v_addc_co_u32_e64 v49, s[0:1], v45, v49, s[0:1]
	global_load_dwordx2 v[59:60], v[48:49], off offset:1760
	s_waitcnt lgkmcnt(0)
	v_lshrrev_b32_e32 v50, 16, v57
	v_mov_b32_e32 v49, v1
	ds_read2_b32 v[63:64], v28 offset0:12 offset1:147
	v_lshlrev_b32_e32 v29, 2, v29
	s_waitcnt vmcnt(3)
	v_mul_f16_sdwa v48, v46, v57 dst_sel:DWORD dst_unused:UNUSED_PAD src0_sel:WORD_1 src1_sel:DWORD
	v_fma_f16 v73, v46, v50, v48
	v_add_u32_e32 v48, 0xb4, v0
	v_lshlrev_b64 v[48:49], 2, v[48:49]
	v_add_u32_e32 v0, 0x1c2, v0
	v_add_co_u32_e64 v48, s[0:1], s8, v48
	v_addc_co_u32_e64 v49, s[0:1], v45, v49, s[0:1]
	global_load_dwordx2 v[61:62], v[48:49], off offset:1760
	v_mul_f16_sdwa v48, v46, v50 dst_sel:DWORD dst_unused:UNUSED_PAD src0_sel:WORD_1 src1_sel:DWORD
	v_fma_f16 v74, v46, v57, -v48
	v_lshlrev_b64 v[48:49], 2, v[0:1]
	s_waitcnt lgkmcnt(0)
	v_lshrrev_b32_e32 v0, 16, v63
	v_add_co_u32_e64 v48, s[0:1], s8, v48
	v_addc_co_u32_e64 v49, s[0:1], v45, v49, s[0:1]
	global_load_dwordx2 v[65:66], v[48:49], off offset:1760
	v_mul_f16_sdwa v46, v47, v63 dst_sel:DWORD dst_unused:UNUSED_PAD src0_sel:WORD_1 src1_sel:DWORD
	s_mov_b32 s1, 0x91a3
	v_fma_f16 v75, v47, v0, v46
	v_mul_f16_sdwa v0, v47, v0 dst_sel:DWORD dst_unused:UNUSED_PAD src0_sel:WORD_1 src1_sel:DWORD
	s_movk_i32 s0, 0x1c2
	v_mul_u32_u24_sdwa v48, v20, s1 dst_sel:DWORD dst_unused:UNUSED_PAD src0_sel:WORD_0 src1_sel:DWORD
	v_fma_f16 v76, v47, v63, -v0
	v_mul_lo_u16_sdwa v0, v48, s0 dst_sel:DWORD dst_unused:UNUSED_PAD src0_sel:BYTE_3 src1_sel:DWORD
	v_sub_u16_e32 v49, v20, v0
	v_lshlrev_b32_e32 v0, 3, v49
	global_load_dwordx2 v[67:68], v0, s[8:9] offset:1760
	v_mul_u32_u24_sdwa v46, v24, s1 dst_sel:DWORD dst_unused:UNUSED_PAD src0_sel:WORD_0 src1_sel:DWORD
	v_mul_lo_u16_sdwa v46, v46, s0 dst_sel:DWORD dst_unused:UNUSED_PAD src0_sel:BYTE_3 src1_sel:DWORD
	ds_read_b32 v51, v37
	ds_read_b32 v47, v44
	ds_read_b32 v0, v43
	ds_read_u16 v57, v30 offset:5942
	ds_read_b32 v50, v36
	v_sub_u16_e32 v46, v24, v46
	v_lshlrev_b32_e32 v52, 3, v46
	global_load_dwordx2 v[69:70], v52, s[8:9] offset:1760
	s_waitcnt vmcnt(6) lgkmcnt(1)
	v_mul_f16_sdwa v63, v57, v53 dst_sel:DWORD dst_unused:UNUSED_PAD src0_sel:DWORD src1_sel:WORD_1
	v_fma_f16 v79, v53, v58, -v63
	v_mul_f16_sdwa v58, v53, v58 dst_sel:DWORD dst_unused:UNUSED_PAD src0_sel:WORD_1 src1_sel:DWORD
	v_fma_f16 v80, v57, v53, v58
	v_mul_u32_u24_sdwa v53, v15, s1 dst_sel:DWORD dst_unused:UNUSED_PAD src0_sel:WORD_0 src1_sel:DWORD
	v_mul_lo_u16_sdwa v53, v53, s0 dst_sel:DWORD dst_unused:UNUSED_PAD src0_sel:BYTE_3 src1_sel:DWORD
	v_sub_u16_e32 v81, v15, v53
	v_lshlrev_b32_e32 v53, 3, v81
	ds_read_b32 v52, v38
	ds_read_b32 v77, v39
	;; [unrolled: 1-line block ×3, first 2 shown]
	global_load_dwordx2 v[57:58], v53, s[8:9] offset:1760
	v_mul_u32_u24_sdwa v71, v14, s1 dst_sel:DWORD dst_unused:UNUSED_PAD src0_sel:WORD_0 src1_sel:DWORD
	v_mul_lo_u16_sdwa v71, v71, s0 dst_sel:DWORD dst_unused:UNUSED_PAD src0_sel:BYTE_3 src1_sel:DWORD
	v_sub_u16_e32 v84, v14, v71
	v_lshlrev_b32_e32 v71, 3, v84
	global_load_dwordx2 v[71:72], v71, s[8:9] offset:1760
	v_lshrrev_b32_e32 v53, 16, v64
	v_mul_f16_sdwa v63, v53, v54 dst_sel:DWORD dst_unused:UNUSED_PAD src0_sel:DWORD src1_sel:WORD_1
	v_fma_f16 v82, v64, v54, -v63
	v_mul_f16_sdwa v83, v64, v54 dst_sel:DWORD dst_unused:UNUSED_PAD src0_sel:DWORD src1_sel:WORD_1
	ds_read2_b32 v[63:64], v19 offset0:84 offset1:219
	v_fma_f16 v83, v53, v54, v83
	ds_read2_b32 v[53:54], v35 offset0:26 offset1:161
	v_add_f16_e32 v101, v79, v82
	v_sub_f16_e32 v102, v80, v83
	s_waitcnt lgkmcnt(1)
	v_lshrrev_b32_e32 v85, 16, v63
	s_waitcnt vmcnt(7)
	v_mul_f16_sdwa v86, v63, v55 dst_sel:DWORD dst_unused:UNUSED_PAD src0_sel:DWORD src1_sel:WORD_1
	v_fma_f16 v86, v85, v55, v86
	v_mul_f16_sdwa v85, v85, v55 dst_sel:DWORD dst_unused:UNUSED_PAD src0_sel:DWORD src1_sel:WORD_1
	v_fma_f16 v63, v63, v55, -v85
	s_waitcnt lgkmcnt(0)
	v_lshrrev_b32_e32 v55, 16, v53
	v_mul_f16_sdwa v85, v53, v56 dst_sel:DWORD dst_unused:UNUSED_PAD src0_sel:DWORD src1_sel:WORD_1
	v_fma_f16 v85, v55, v56, v85
	v_mul_f16_sdwa v55, v55, v56 dst_sel:DWORD dst_unused:UNUSED_PAD src0_sel:DWORD src1_sel:WORD_1
	v_fma_f16 v87, v53, v56, -v55
	v_lshrrev_b32_e32 v53, 16, v64
	s_waitcnt vmcnt(6)
	v_mul_f16_sdwa v55, v53, v59 dst_sel:DWORD dst_unused:UNUSED_PAD src0_sel:DWORD src1_sel:WORD_1
	v_fma_f16 v88, v64, v59, -v55
	v_mul_f16_sdwa v55, v64, v59 dst_sel:DWORD dst_unused:UNUSED_PAD src0_sel:DWORD src1_sel:WORD_1
	v_fma_f16 v59, v53, v59, v55
	v_lshrrev_b32_e32 v53, 16, v54
	ds_read2_b32 v[55:56], v31 offset0:98 offset1:233
	v_mul_f16_sdwa v64, v53, v60 dst_sel:DWORD dst_unused:UNUSED_PAD src0_sel:DWORD src1_sel:WORD_1
	v_fma_f16 v64, v54, v60, -v64
	v_mul_f16_sdwa v54, v54, v60 dst_sel:DWORD dst_unused:UNUSED_PAD src0_sel:DWORD src1_sel:WORD_1
	v_fma_f16 v60, v53, v60, v54
	ds_read2_b32 v[53:54], v17 offset0:40 offset1:175
	s_waitcnt lgkmcnt(1)
	v_lshrrev_b32_e32 v89, 16, v55
	v_cmp_lt_u32_e64 s[0:1], 44, v8
	v_lshlrev_b32_e32 v49, 2, v49
	v_lshl_add_u32 v46, v46, 2, 0
	s_waitcnt vmcnt(5)
	v_mul_f16_sdwa v90, v55, v61 dst_sel:DWORD dst_unused:UNUSED_PAD src0_sel:DWORD src1_sel:WORD_1
	v_fma_f16 v90, v89, v61, v90
	v_mul_f16_sdwa v89, v89, v61 dst_sel:DWORD dst_unused:UNUSED_PAD src0_sel:DWORD src1_sel:WORD_1
	v_fma_f16 v61, v55, v61, -v89
	s_waitcnt lgkmcnt(0)
	v_lshrrev_b32_e32 v55, 16, v53
	v_mul_f16_sdwa v89, v53, v62 dst_sel:DWORD dst_unused:UNUSED_PAD src0_sel:DWORD src1_sel:WORD_1
	v_fma_f16 v89, v55, v62, v89
	v_mul_f16_sdwa v55, v55, v62 dst_sel:DWORD dst_unused:UNUSED_PAD src0_sel:DWORD src1_sel:WORD_1
	v_fma_f16 v62, v53, v62, -v55
	v_lshrrev_b32_e32 v53, 16, v56
	s_waitcnt vmcnt(4)
	v_mul_f16_sdwa v55, v53, v65 dst_sel:DWORD dst_unused:UNUSED_PAD src0_sel:DWORD src1_sel:WORD_1
	v_fma_f16 v91, v56, v65, -v55
	v_mul_f16_sdwa v55, v56, v65 dst_sel:DWORD dst_unused:UNUSED_PAD src0_sel:DWORD src1_sel:WORD_1
	v_fma_f16 v65, v53, v65, v55
	v_lshrrev_b32_e32 v53, 16, v54
	ds_read2_b32 v[55:56], v34 offset0:112 offset1:247
	v_mul_f16_sdwa v92, v53, v66 dst_sel:DWORD dst_unused:UNUSED_PAD src0_sel:DWORD src1_sel:WORD_1
	v_fma_f16 v92, v54, v66, -v92
	v_mul_f16_sdwa v54, v54, v66 dst_sel:DWORD dst_unused:UNUSED_PAD src0_sel:DWORD src1_sel:WORD_1
	v_fma_f16 v66, v53, v66, v54
	ds_read2_b32 v[53:54], v23 offset0:54 offset1:189
	s_waitcnt lgkmcnt(1)
	v_lshrrev_b32_e32 v93, 16, v55
	s_waitcnt vmcnt(3)
	v_mul_f16_sdwa v94, v55, v67 dst_sel:DWORD dst_unused:UNUSED_PAD src0_sel:DWORD src1_sel:WORD_1
	v_fma_f16 v94, v93, v67, v94
	v_mul_f16_sdwa v93, v93, v67 dst_sel:DWORD dst_unused:UNUSED_PAD src0_sel:DWORD src1_sel:WORD_1
	v_fma_f16 v67, v55, v67, -v93
	s_waitcnt lgkmcnt(0)
	v_lshrrev_b32_e32 v55, 16, v53
	v_mul_f16_sdwa v93, v53, v68 dst_sel:DWORD dst_unused:UNUSED_PAD src0_sel:DWORD src1_sel:WORD_1
	v_fma_f16 v93, v55, v68, v93
	v_mul_f16_sdwa v55, v55, v68 dst_sel:DWORD dst_unused:UNUSED_PAD src0_sel:DWORD src1_sel:WORD_1
	v_fma_f16 v68, v53, v68, -v55
	v_lshrrev_b32_e32 v53, 16, v56
	s_waitcnt vmcnt(2)
	v_mul_f16_sdwa v55, v53, v69 dst_sel:DWORD dst_unused:UNUSED_PAD src0_sel:DWORD src1_sel:WORD_1
	v_fma_f16 v95, v56, v69, -v55
	v_mul_f16_sdwa v55, v56, v69 dst_sel:DWORD dst_unused:UNUSED_PAD src0_sel:DWORD src1_sel:WORD_1
	v_fma_f16 v69, v53, v69, v55
	v_lshrrev_b32_e32 v53, 16, v54
	ds_read2_b32 v[55:56], v13 offset0:62 offset1:197
	v_mul_f16_sdwa v96, v53, v70 dst_sel:DWORD dst_unused:UNUSED_PAD src0_sel:DWORD src1_sel:WORD_1
	v_fma_f16 v96, v54, v70, -v96
	v_mul_f16_sdwa v54, v54, v70 dst_sel:DWORD dst_unused:UNUSED_PAD src0_sel:DWORD src1_sel:WORD_1
	v_fma_f16 v70, v53, v70, v54
	ds_read2_b32 v[53:54], v33 offset0:68 offset1:203
	s_waitcnt lgkmcnt(1)
	v_lshrrev_b32_e32 v97, 16, v55
	s_waitcnt vmcnt(1)
	v_mul_f16_sdwa v98, v55, v57 dst_sel:DWORD dst_unused:UNUSED_PAD src0_sel:DWORD src1_sel:WORD_1
	v_fma_f16 v98, v97, v57, v98
	v_mul_f16_sdwa v97, v97, v57 dst_sel:DWORD dst_unused:UNUSED_PAD src0_sel:DWORD src1_sel:WORD_1
	v_fma_f16 v55, v55, v57, -v97
	s_waitcnt lgkmcnt(0)
	v_lshrrev_b32_e32 v57, 16, v53
	v_mul_f16_sdwa v97, v53, v58 dst_sel:DWORD dst_unused:UNUSED_PAD src0_sel:DWORD src1_sel:WORD_1
	v_fma_f16 v97, v57, v58, v97
	v_mul_f16_sdwa v57, v57, v58 dst_sel:DWORD dst_unused:UNUSED_PAD src0_sel:DWORD src1_sel:WORD_1
	v_fma_f16 v53, v53, v58, -v57
	v_lshrrev_b32_e32 v57, 16, v56
	s_waitcnt vmcnt(0)
	v_mul_f16_sdwa v58, v57, v71 dst_sel:DWORD dst_unused:UNUSED_PAD src0_sel:DWORD src1_sel:WORD_1
	v_fma_f16 v58, v56, v71, -v58
	v_mul_f16_sdwa v56, v56, v71 dst_sel:DWORD dst_unused:UNUSED_PAD src0_sel:DWORD src1_sel:WORD_1
	v_fma_f16 v56, v57, v71, v56
	v_lshrrev_b32_e32 v57, 16, v54
	v_mul_f16_sdwa v71, v57, v72 dst_sel:DWORD dst_unused:UNUSED_PAD src0_sel:DWORD src1_sel:WORD_1
	v_fma_f16 v71, v54, v72, -v71
	v_mul_f16_sdwa v54, v54, v72 dst_sel:DWORD dst_unused:UNUSED_PAD src0_sel:DWORD src1_sel:WORD_1
	v_fma_f16 v54, v57, v72, v54
	v_add_f16_e32 v57, v74, v76
	v_fma_f16 v57, v57, -0.5, v78
	v_sub_f16_e32 v72, v73, v75
	v_fma_f16 v99, v72, s4, v57
	v_fma_f16 v57, v72, s5, v57
	v_lshrrev_b32_e32 v72, 16, v78
	v_add_f16_e32 v100, v72, v73
	v_add_f16_e32 v73, v73, v75
	v_fma_f16 v72, v73, -0.5, v72
	v_add_f16_e32 v73, v78, v74
	v_add_f16_e32 v73, v73, v76
	v_sub_f16_e32 v74, v74, v76
	ds_read_b32 v76, v41
	v_add_f16_e32 v100, v100, v75
	v_fma_f16 v75, v74, s5, v72
	v_fma_f16 v72, v74, s4, v72
	ds_read_b32 v74, v40
	ds_read_b32 v78, v42
	s_waitcnt lgkmcnt(2)
	v_fma_f16 v101, v101, -0.5, v76
	v_fma_f16 v103, v102, s4, v101
	v_fma_f16 v101, v102, s5, v101
	v_lshrrev_b32_e32 v102, 16, v76
	v_add_f16_e32 v104, v102, v80
	v_add_f16_e32 v80, v80, v83
	v_fma_f16 v80, v80, -0.5, v102
	v_add_f16_e32 v76, v76, v79
	v_sub_f16_e32 v79, v79, v82
	v_add_f16_e32 v76, v76, v82
	v_fma_f16 v82, v79, s5, v80
	v_fma_f16 v79, v79, s4, v80
	v_add_f16_e32 v80, v63, v87
	v_add_f16_e32 v104, v104, v83
	s_waitcnt lgkmcnt(1)
	v_fma_f16 v80, v80, -0.5, v74
	v_sub_f16_e32 v83, v86, v85
	v_fma_f16 v102, v83, s4, v80
	v_fma_f16 v80, v83, s5, v80
	v_lshrrev_b32_e32 v83, 16, v74
	v_add_f16_e32 v105, v83, v86
	v_add_f16_e32 v105, v105, v85
	;; [unrolled: 1-line block ×3, first 2 shown]
	v_fma_f16 v83, v85, -0.5, v83
	v_add_f16_e32 v74, v74, v63
	v_sub_f16_e32 v63, v63, v87
	v_fma_f16 v85, v63, s5, v83
	v_fma_f16 v63, v63, s4, v83
	v_add_f16_e32 v83, v88, v64
	v_fma_f16 v83, v83, -0.5, v77
	v_sub_f16_e32 v86, v59, v60
	v_add_f16_e32 v74, v74, v87
	v_fma_f16 v87, v86, s4, v83
	v_fma_f16 v83, v86, s5, v83
	v_lshrrev_b32_e32 v86, 16, v77
	v_add_f16_e32 v106, v86, v59
	v_add_f16_e32 v106, v106, v60
	;; [unrolled: 1-line block ×4, first 2 shown]
	v_fma_f16 v59, v59, -0.5, v86
	v_add_f16_e32 v60, v60, v64
	v_sub_f16_e32 v64, v88, v64
	v_fma_f16 v77, v64, s5, v59
	v_fma_f16 v59, v64, s4, v59
	v_pack_b32_f16 v64, v73, v100
	v_pack_b32_f16 v57, v57, v72
	s_waitcnt lgkmcnt(0)
	s_barrier
	ds_write_b32 v30, v64
	v_pack_b32_f16 v64, v99, v75
	ds_write_b32 v30, v57 offset:3600
	v_pack_b32_f16 v57, v76, v104
	ds_write_b32 v30, v64 offset:1800
	ds_write_b32 v41, v57
	v_pack_b32_f16 v57, v103, v82
	ds_write_b32 v41, v57 offset:1800
	v_pack_b32_f16 v57, v101, v79
	ds_write_b32 v41, v57 offset:3600
	v_pack_b32_f16 v57, v74, v105
	ds_write_b32 v40, v57
	v_pack_b32_f16 v57, v102, v85
	ds_write_b32 v40, v57 offset:1800
	v_pack_b32_f16 v57, v80, v63
	ds_write_b32 v40, v57 offset:3600
	v_mov_b32_e32 v57, 0x1518
	v_cndmask_b32_e64 v57, 0, v57, s[0:1]
	v_add3_u32 v29, 0, v57, v29
	v_pack_b32_f16 v57, v60, v106
	ds_write_b32 v29, v57
	v_pack_b32_f16 v57, v87, v77
	ds_write_b32 v29, v57 offset:1800
	v_pack_b32_f16 v57, v83, v59
	ds_write_b32 v29, v57 offset:3600
	v_lshrrev_b32_e32 v57, 16, v52
	v_add_f16_e32 v29, v52, v61
	v_add_f16_e32 v59, v57, v90
	;; [unrolled: 1-line block ×4, first 2 shown]
	v_lshrrev_b32_e32 v60, 16, v51
	v_pack_b32_f16 v29, v29, v59
	v_add_f16_e32 v59, v51, v91
	v_add_f16_e32 v63, v60, v65
	;; [unrolled: 1-line block ×4, first 2 shown]
	v_pack_b32_f16 v59, v59, v63
	ds_write2_b32 v27, v29, v59 offset0:32 offset1:167
	v_add_f16_e32 v27, v61, v62
	v_fma_f16 v27, v27, -0.5, v52
	v_add_f16_e32 v52, v90, v89
	v_sub_f16_e32 v29, v90, v89
	v_fma_f16 v52, v52, -0.5, v57
	v_sub_f16_e32 v57, v61, v62
	v_add_f16_e32 v59, v91, v92
	v_add_f16_e32 v61, v65, v66
	v_fma_f16 v51, v59, -0.5, v51
	v_sub_f16_e32 v59, v65, v66
	v_fma_f16 v60, v61, -0.5, v60
	v_sub_f16_e32 v61, v91, v92
	v_fma_f16 v62, v29, s5, v27
	v_fma_f16 v63, v57, s4, v52
	v_pack_b32_f16 v62, v62, v63
	v_fma_f16 v63, v59, s5, v51
	v_fma_f16 v27, v29, s4, v27
	;; [unrolled: 1-line block ×5, first 2 shown]
	v_pack_b32_f16 v27, v27, v29
	v_pack_b32_f16 v29, v51, v52
	ds_write2_b32 v31, v27, v29 offset0:98 offset1:233
	v_add_f16_e32 v27, v67, v68
	v_fma_f16 v27, v27, -0.5, v50
	v_sub_f16_e32 v29, v94, v93
	v_fma_f16 v51, v29, s4, v27
	v_fma_f16 v27, v29, s5, v27
	v_lshrrev_b32_e32 v29, 16, v50
	v_add_f16_e32 v57, v94, v93
	v_add_f16_e32 v52, v29, v94
	v_fma_f16 v29, v57, -0.5, v29
	v_sub_f16_e32 v57, v67, v68
	s_movk_i32 s0, 0x1518
	v_fma_f16 v64, v61, s4, v60
	v_add_f16_e32 v50, v50, v67
	v_fma_f16 v59, v57, s5, v29
	v_fma_f16 v29, v57, s4, v29
	v_mul_u32_u24_sdwa v48, v48, s0 dst_sel:DWORD dst_unused:UNUSED_PAD src0_sel:BYTE_3 src1_sel:DWORD
	v_pack_b32_f16 v63, v63, v64
	v_add_u32_e32 v64, 0x2400, v30
	v_add_f16_e32 v52, v52, v93
	v_add_f16_e32 v50, v50, v68
	v_add3_u32 v48, 0, v48, v49
	v_pack_b32_f16 v27, v27, v29
	ds_write2_b32 v64, v62, v63 offset0:36 offset1:171
	v_pack_b32_f16 v49, v50, v52
	ds_write_b32 v48, v27 offset:3600
	v_add_f16_e32 v27, v95, v96
	ds_write_b32 v48, v49
	v_pack_b32_f16 v49, v51, v59
	v_fma_f16 v27, v27, -0.5, v47
	v_sub_f16_e32 v29, v69, v70
	ds_write_b32 v48, v49 offset:1800
	v_fma_f16 v48, v29, s4, v27
	v_fma_f16 v27, v29, s5, v27
	v_lshrrev_b32_e32 v29, 16, v47
	v_add_f16_e32 v50, v69, v70
	v_add_f16_e32 v49, v29, v69
	v_fma_f16 v29, v50, -0.5, v29
	v_sub_f16_e32 v50, v95, v96
	v_add_f16_e32 v47, v47, v95
	v_fma_f16 v51, v50, s5, v29
	v_fma_f16 v29, v50, s4, v29
	v_add_f16_e32 v49, v49, v70
	v_add_f16_e32 v47, v47, v96
	v_pack_b32_f16 v27, v27, v29
	v_pack_b32_f16 v47, v47, v49
	ds_write_b32 v46, v27 offset:14400
	v_add_f16_e32 v27, v55, v53
	ds_write_b32 v46, v47 offset:10800
	v_pack_b32_f16 v47, v48, v51
	v_fma_f16 v27, v27, -0.5, v0
	v_sub_f16_e32 v29, v98, v97
	ds_write_b32 v46, v47 offset:12600
	v_fma_f16 v46, v29, s4, v27
	v_fma_f16 v27, v29, s5, v27
	v_lshrrev_b32_e32 v29, 16, v0
	v_add_f16_e32 v47, v29, v98
	v_add_f16_e32 v48, v98, v97
	;; [unrolled: 1-line block ×4, first 2 shown]
	v_fma_f16 v29, v48, -0.5, v29
	v_add_f16_e32 v0, v0, v53
	v_sub_f16_e32 v48, v55, v53
	v_fma_f16 v49, v48, s5, v29
	v_pack_b32_f16 v0, v0, v47
	v_lshl_add_u32 v47, v81, 2, 0
	v_fma_f16 v29, v48, s4, v29
	ds_write_b32 v47, v0 offset:10800
	v_pack_b32_f16 v0, v46, v49
	ds_write_b32 v47, v0 offset:12600
	v_pack_b32_f16 v0, v27, v29
	ds_write_b32 v47, v0 offset:14400
	v_add_f16_e32 v0, v58, v71
	v_fma_f16 v0, v0, -0.5, v78
	v_sub_f16_e32 v27, v56, v54
	v_fma_f16 v29, v27, s4, v0
	v_fma_f16 v0, v27, s5, v0
	v_lshrrev_b32_e32 v27, 16, v78
	v_add_f16_e32 v47, v56, v54
	v_add_f16_e32 v46, v27, v56
	v_fma_f16 v27, v47, -0.5, v27
	v_add_f16_e32 v47, v78, v58
	v_sub_f16_e32 v48, v58, v71
	v_add_f16_e32 v46, v46, v54
	v_add_f16_e32 v47, v47, v71
	v_fma_f16 v49, v48, s5, v27
	v_fma_f16 v27, v48, s4, v27
	v_add_co_u32_e64 v2, s[0:1], s6, v2
	v_pack_b32_f16 v46, v47, v46
	v_lshl_add_u32 v47, v84, 2, 0
	v_pack_b32_f16 v29, v29, v49
	v_pack_b32_f16 v0, v0, v27
	v_addc_co_u32_e64 v3, s[0:1], 0, v3, s[0:1]
	ds_write_b32 v47, v46 offset:10800
	ds_write_b32 v47, v29 offset:12600
	ds_write_b32 v47, v0 offset:14400
	s_waitcnt lgkmcnt(0)
	s_barrier
	global_load_dwordx2 v[46:47], v[2:3], off offset:1264
	v_add_co_u32_e64 v2, s[0:1], s6, v4
	v_addc_co_u32_e64 v3, s[0:1], 0, v5, s[0:1]
	global_load_dwordx2 v[2:3], v[2:3], off offset:1264
	v_lshlrev_b32_e32 v0, 1, v16
	v_add_co_u32_e64 v48, s[0:1], s6, v6
	v_lshlrev_b64 v[4:5], 2, v[0:1]
	v_addc_co_u32_e64 v49, s[0:1], 0, v7, s[0:1]
	v_add_co_u32_e64 v0, s[0:1], s8, v4
	v_addc_co_u32_e64 v4, s[0:1], v45, v5, s[0:1]
	ds_read2_b32 v[26:27], v26 offset0:70 offset1:205
	v_add_co_u32_e64 v50, s[0:1], s6, v0
	v_addc_co_u32_e64 v51, s[0:1], 0, v4, s[0:1]
	global_load_dwordx2 v[6:7], v[48:49], off offset:1264
	global_load_dwordx2 v[4:5], v[50:51], off offset:1264
	ds_read2_b32 v[28:29], v28 offset0:12 offset1:147
	s_waitcnt lgkmcnt(1)
	v_lshrrev_b32_e32 v0, 16, v26
	s_waitcnt vmcnt(3)
	v_mul_f16_sdwa v48, v46, v26 dst_sel:DWORD dst_unused:UNUSED_PAD src0_sel:WORD_1 src1_sel:DWORD
	v_fma_f16 v50, v46, v0, v48
	v_mul_f16_sdwa v0, v46, v0 dst_sel:DWORD dst_unused:UNUSED_PAD src0_sel:WORD_1 src1_sel:DWORD
	v_fma_f16 v49, v46, v26, -v0
	s_waitcnt lgkmcnt(0)
	v_lshrrev_b32_e32 v0, 16, v28
	v_mul_f16_sdwa v26, v47, v28 dst_sel:DWORD dst_unused:UNUSED_PAD src0_sel:WORD_1 src1_sel:DWORD
	v_fma_f16 v52, v47, v0, v26
	v_mul_f16_sdwa v0, v47, v0 dst_sel:DWORD dst_unused:UNUSED_PAD src0_sel:WORD_1 src1_sel:DWORD
	v_fma_f16 v51, v47, v28, -v0
	ds_read_b32 v47, v37
	ds_read_b32 v28, v44
	;; [unrolled: 1-line block ×3, first 2 shown]
	ds_read_u16 v0, v30 offset:5942
	ds_read_b32 v46, v36
	ds_read_b32 v48, v38
	;; [unrolled: 1-line block ×4, first 2 shown]
	s_waitcnt vmcnt(2) lgkmcnt(4)
	v_mul_f16_sdwa v53, v0, v2 dst_sel:DWORD dst_unused:UNUSED_PAD src0_sel:DWORD src1_sel:WORD_1
	v_fma_f16 v69, v2, v27, -v53
	v_mul_f16_sdwa v27, v2, v27 dst_sel:DWORD dst_unused:UNUSED_PAD src0_sel:WORD_1 src1_sel:DWORD
	v_fma_f16 v27, v0, v2, v27
	v_lshrrev_b32_e32 v2, 16, v29
	v_mul_f16_sdwa v0, v2, v3 dst_sel:DWORD dst_unused:UNUSED_PAD src0_sel:DWORD src1_sel:WORD_1
	v_fma_f16 v70, v29, v3, -v0
	v_lshlrev_b32_e32 v0, 1, v18
	v_lshlrev_b64 v[55:56], 2, v[0:1]
	ds_read2_b32 v[53:54], v19 offset0:84 offset1:219
	v_add_co_u32_e64 v0, s[0:1], s8, v55
	v_addc_co_u32_e64 v19, s[0:1], v45, v56, s[0:1]
	v_add_co_u32_e64 v55, s[0:1], s6, v0
	v_lshlrev_b32_e32 v0, 1, v22
	v_addc_co_u32_e64 v56, s[0:1], 0, v19, s[0:1]
	v_lshlrev_b64 v[57:58], 2, v[0:1]
	global_load_dwordx2 v[55:56], v[55:56], off offset:1264
	v_add_co_u32_e64 v0, s[0:1], s8, v57
	v_addc_co_u32_e64 v19, s[0:1], v45, v58, s[0:1]
	v_add_co_u32_e64 v57, s[0:1], s6, v0
	v_addc_co_u32_e64 v58, s[0:1], 0, v19, s[0:1]
	global_load_dwordx2 v[57:58], v[57:58], off offset:1264
	v_lshlrev_b32_e32 v0, 1, v20
	v_lshlrev_b64 v[59:60], 2, v[0:1]
	v_mul_f16_sdwa v29, v29, v3 dst_sel:DWORD dst_unused:UNUSED_PAD src0_sel:DWORD src1_sel:WORD_1
	v_add_co_u32_e64 v0, s[0:1], s8, v59
	v_addc_co_u32_e64 v19, s[0:1], v45, v60, s[0:1]
	v_add_co_u32_e64 v59, s[0:1], s6, v0
	v_lshlrev_b32_e32 v0, 1, v24
	v_addc_co_u32_e64 v60, s[0:1], 0, v19, s[0:1]
	global_load_dwordx2 v[59:60], v[59:60], off offset:1264
	v_lshlrev_b64 v[61:62], 2, v[0:1]
	v_add_f16_e32 v77, v69, v70
	v_add_co_u32_e64 v0, s[0:1], s8, v61
	v_addc_co_u32_e64 v19, s[0:1], v45, v62, s[0:1]
	v_add_co_u32_e64 v61, s[0:1], s6, v0
	v_addc_co_u32_e64 v62, s[0:1], 0, v19, s[0:1]
	global_load_dwordx2 v[61:62], v[61:62], off offset:1264
	v_lshlrev_b32_e32 v0, 1, v15
	v_lshlrev_b64 v[63:64], 2, v[0:1]
	v_lshlrev_b32_e32 v0, 1, v14
	v_add_co_u32_e64 v19, s[0:1], s8, v63
	v_addc_co_u32_e64 v64, s[0:1], v45, v64, s[0:1]
	v_add_co_u32_e64 v63, s[0:1], s6, v19
	v_addc_co_u32_e64 v64, s[0:1], 0, v64, s[0:1]
	v_lshlrev_b64 v[65:66], 2, v[0:1]
	global_load_dwordx2 v[63:64], v[63:64], off offset:1264
	v_add_co_u32_e64 v0, s[0:1], s8, v65
	v_addc_co_u32_e64 v19, s[0:1], v45, v66, s[0:1]
	v_add_co_u32_e64 v65, s[0:1], s6, v0
	v_addc_co_u32_e64 v66, s[0:1], 0, v19, s[0:1]
	global_load_dwordx2 v[65:66], v[65:66], off offset:1264
	v_fma_f16 v0, v2, v3, v29
	ds_read2_b32 v[2:3], v35 offset0:26 offset1:161
	s_waitcnt lgkmcnt(1)
	v_lshrrev_b32_e32 v19, 16, v53
	s_waitcnt vmcnt(7)
	v_mul_f16_sdwa v29, v53, v6 dst_sel:DWORD dst_unused:UNUSED_PAD src0_sel:DWORD src1_sel:WORD_1
	v_fma_f16 v29, v19, v6, v29
	v_mul_f16_sdwa v19, v19, v6 dst_sel:DWORD dst_unused:UNUSED_PAD src0_sel:DWORD src1_sel:WORD_1
	v_fma_f16 v19, v53, v6, -v19
	s_waitcnt lgkmcnt(0)
	v_lshrrev_b32_e32 v6, 16, v2
	v_mul_f16_sdwa v35, v2, v7 dst_sel:DWORD dst_unused:UNUSED_PAD src0_sel:DWORD src1_sel:WORD_1
	v_fma_f16 v35, v6, v7, v35
	v_mul_f16_sdwa v6, v6, v7 dst_sel:DWORD dst_unused:UNUSED_PAD src0_sel:DWORD src1_sel:WORD_1
	v_fma_f16 v45, v2, v7, -v6
	v_lshrrev_b32_e32 v2, 16, v54
	s_waitcnt vmcnt(6)
	v_mul_f16_sdwa v6, v2, v4 dst_sel:DWORD dst_unused:UNUSED_PAD src0_sel:DWORD src1_sel:WORD_1
	v_fma_f16 v53, v54, v4, -v6
	v_mul_f16_sdwa v6, v54, v4 dst_sel:DWORD dst_unused:UNUSED_PAD src0_sel:DWORD src1_sel:WORD_1
	v_fma_f16 v54, v2, v4, v6
	v_lshrrev_b32_e32 v2, 16, v3
	ds_read2_b32 v[6:7], v31 offset0:98 offset1:233
	v_mul_f16_sdwa v4, v2, v5 dst_sel:DWORD dst_unused:UNUSED_PAD src0_sel:DWORD src1_sel:WORD_1
	v_fma_f16 v31, v3, v5, -v4
	v_mul_f16_sdwa v3, v3, v5 dst_sel:DWORD dst_unused:UNUSED_PAD src0_sel:DWORD src1_sel:WORD_1
	v_fma_f16 v71, v2, v5, v3
	ds_read2_b32 v[2:3], v17 offset0:40 offset1:175
	s_waitcnt lgkmcnt(1)
	v_lshrrev_b32_e32 v4, 16, v6
	s_waitcnt vmcnt(5)
	v_mul_f16_sdwa v5, v6, v55 dst_sel:DWORD dst_unused:UNUSED_PAD src0_sel:DWORD src1_sel:WORD_1
	v_fma_f16 v17, v4, v55, v5
	v_mul_f16_sdwa v4, v4, v55 dst_sel:DWORD dst_unused:UNUSED_PAD src0_sel:DWORD src1_sel:WORD_1
	v_fma_f16 v6, v6, v55, -v4
	s_waitcnt lgkmcnt(0)
	v_lshrrev_b32_e32 v4, 16, v2
	v_mul_f16_sdwa v5, v2, v56 dst_sel:DWORD dst_unused:UNUSED_PAD src0_sel:DWORD src1_sel:WORD_1
	v_fma_f16 v55, v4, v56, v5
	v_mul_f16_sdwa v4, v4, v56 dst_sel:DWORD dst_unused:UNUSED_PAD src0_sel:DWORD src1_sel:WORD_1
	v_fma_f16 v56, v2, v56, -v4
	v_lshrrev_b32_e32 v2, 16, v7
	s_waitcnt vmcnt(4)
	v_mul_f16_sdwa v4, v2, v57 dst_sel:DWORD dst_unused:UNUSED_PAD src0_sel:DWORD src1_sel:WORD_1
	v_fma_f16 v72, v7, v57, -v4
	v_mul_f16_sdwa v4, v7, v57 dst_sel:DWORD dst_unused:UNUSED_PAD src0_sel:DWORD src1_sel:WORD_1
	v_fma_f16 v7, v2, v57, v4
	v_lshrrev_b32_e32 v2, 16, v3
	ds_read2_b32 v[4:5], v34 offset0:112 offset1:247
	v_mul_f16_sdwa v34, v2, v58 dst_sel:DWORD dst_unused:UNUSED_PAD src0_sel:DWORD src1_sel:WORD_1
	v_fma_f16 v34, v3, v58, -v34
	v_mul_f16_sdwa v3, v3, v58 dst_sel:DWORD dst_unused:UNUSED_PAD src0_sel:DWORD src1_sel:WORD_1
	;; [unrolled: 26-line block ×3, first 2 shown]
	v_fma_f16 v62, v2, v62, v3
	ds_read2_b32 v[2:3], v33 offset0:68 offset1:203
	s_waitcnt lgkmcnt(1)
	v_lshrrev_b32_e32 v74, 16, v4
	v_sub_f16_e32 v78, v27, v0
	s_waitcnt vmcnt(1)
	v_mul_f16_sdwa v33, v4, v63 dst_sel:DWORD dst_unused:UNUSED_PAD src0_sel:DWORD src1_sel:WORD_1
	v_fma_f16 v33, v74, v63, v33
	v_mul_f16_sdwa v74, v74, v63 dst_sel:DWORD dst_unused:UNUSED_PAD src0_sel:DWORD src1_sel:WORD_1
	v_fma_f16 v4, v4, v63, -v74
	s_waitcnt lgkmcnt(0)
	v_lshrrev_b32_e32 v63, 16, v2
	v_mul_f16_sdwa v74, v2, v64 dst_sel:DWORD dst_unused:UNUSED_PAD src0_sel:DWORD src1_sel:WORD_1
	v_fma_f16 v74, v63, v64, v74
	v_mul_f16_sdwa v63, v63, v64 dst_sel:DWORD dst_unused:UNUSED_PAD src0_sel:DWORD src1_sel:WORD_1
	v_fma_f16 v2, v2, v64, -v63
	v_lshrrev_b32_e32 v63, 16, v5
	s_waitcnt vmcnt(0)
	v_mul_f16_sdwa v64, v63, v65 dst_sel:DWORD dst_unused:UNUSED_PAD src0_sel:DWORD src1_sel:WORD_1
	v_fma_f16 v64, v5, v65, -v64
	v_mul_f16_sdwa v5, v5, v65 dst_sel:DWORD dst_unused:UNUSED_PAD src0_sel:DWORD src1_sel:WORD_1
	v_fma_f16 v5, v63, v65, v5
	v_lshrrev_b32_e32 v63, 16, v3
	v_mul_f16_sdwa v65, v63, v66 dst_sel:DWORD dst_unused:UNUSED_PAD src0_sel:DWORD src1_sel:WORD_1
	v_fma_f16 v65, v3, v66, -v65
	v_mul_f16_sdwa v3, v3, v66 dst_sel:DWORD dst_unused:UNUSED_PAD src0_sel:DWORD src1_sel:WORD_1
	v_fma_f16 v3, v63, v66, v3
	v_add_f16_e32 v63, v49, v51
	v_fma_f16 v63, v63, -0.5, v68
	v_sub_f16_e32 v66, v50, v52
	v_fma_f16 v75, v66, s4, v63
	v_fma_f16 v63, v66, s5, v63
	v_lshrrev_b32_e32 v66, 16, v68
	v_add_f16_e32 v76, v66, v50
	v_add_f16_e32 v50, v50, v52
	v_fma_f16 v50, v50, -0.5, v66
	ds_read_b32 v66, v41
	v_add_f16_e32 v76, v76, v52
	v_add_f16_e32 v52, v68, v49
	v_sub_f16_e32 v49, v49, v51
	v_add_f16_e32 v52, v52, v51
	s_waitcnt lgkmcnt(0)
	v_fma_f16 v77, v77, -0.5, v66
	v_fma_f16 v79, v78, s4, v77
	v_fma_f16 v77, v78, s5, v77
	v_lshrrev_b32_e32 v78, 16, v66
	v_add_f16_e32 v80, v78, v27
	v_add_f16_e32 v80, v80, v0
	;; [unrolled: 1-line block ×3, first 2 shown]
	v_fma_f16 v51, v49, s5, v50
	v_fma_f16 v49, v49, s4, v50
	ds_read_b32 v50, v40
	ds_read_b32 v68, v42
	v_fma_f16 v0, v0, -0.5, v78
	v_add_f16_e32 v27, v66, v69
	v_sub_f16_e32 v66, v69, v70
	v_add_f16_e32 v27, v27, v70
	v_fma_f16 v69, v66, s5, v0
	v_fma_f16 v0, v66, s4, v0
	v_pack_b32_f16 v52, v52, v76
	v_pack_b32_f16 v51, v75, v51
	;; [unrolled: 1-line block ×5, first 2 shown]
	s_waitcnt lgkmcnt(0)
	s_barrier
	ds_write_b32 v30, v52
	ds_write_b32 v30, v51 offset:5400
	ds_write_b32 v30, v49 offset:10800
	ds_write_b32 v41, v27
	v_pack_b32_f16 v27, v79, v69
	ds_write_b32 v41, v0 offset:10800
	v_add_f16_e32 v0, v19, v45
	ds_write_b32 v41, v27 offset:5400
	v_fma_f16 v0, v0, -0.5, v50
	v_sub_f16_e32 v27, v29, v35
	v_fma_f16 v41, v27, s4, v0
	v_fma_f16 v0, v27, s5, v0
	v_lshrrev_b32_e32 v27, 16, v50
	v_add_f16_e32 v49, v27, v29
	v_add_f16_e32 v29, v29, v35
	v_fma_f16 v27, v29, -0.5, v27
	v_add_f16_e32 v29, v50, v19
	v_sub_f16_e32 v19, v19, v45
	v_add_f16_e32 v49, v49, v35
	v_fma_f16 v35, v19, s5, v27
	v_fma_f16 v19, v19, s4, v27
	v_add_f16_e32 v29, v29, v45
	v_pack_b32_f16 v0, v0, v19
	v_pack_b32_f16 v27, v29, v49
	ds_write_b32 v40, v0 offset:10800
	v_add_f16_e32 v0, v53, v31
	ds_write_b32 v40, v27
	v_pack_b32_f16 v27, v41, v35
	v_fma_f16 v0, v0, -0.5, v67
	v_sub_f16_e32 v19, v54, v71
	ds_write_b32 v40, v27 offset:5400
	v_fma_f16 v27, v19, s4, v0
	v_fma_f16 v0, v19, s5, v0
	v_lshrrev_b32_e32 v19, 16, v67
	v_add_f16_e32 v35, v54, v71
	v_add_f16_e32 v29, v19, v54
	v_fma_f16 v19, v35, -0.5, v19
	v_add_f16_e32 v35, v67, v53
	v_add_f16_e32 v35, v35, v31
	v_sub_f16_e32 v31, v53, v31
	v_fma_f16 v40, v31, s5, v19
	v_fma_f16 v19, v31, s4, v19
	v_add_f16_e32 v31, v6, v56
	v_fma_f16 v31, v31, -0.5, v48
	v_sub_f16_e32 v41, v17, v55
	v_fma_f16 v45, v41, s4, v31
	v_fma_f16 v31, v41, s5, v31
	v_lshrrev_b32_e32 v41, 16, v48
	v_add_f16_e32 v49, v41, v17
	v_add_f16_e32 v17, v17, v55
	v_fma_f16 v17, v17, -0.5, v41
	v_add_f16_e32 v41, v48, v6
	v_sub_f16_e32 v6, v6, v56
	v_fma_f16 v48, v6, s5, v17
	v_fma_f16 v6, v6, s4, v17
	v_add_f16_e32 v17, v72, v34
	v_fma_f16 v17, v17, -0.5, v47
	v_sub_f16_e32 v50, v7, v57
	v_fma_f16 v51, v50, s4, v17
	v_fma_f16 v17, v50, s5, v17
	v_lshrrev_b32_e32 v50, 16, v47
	v_add_f16_e32 v52, v50, v7
	v_add_f16_e32 v7, v7, v57
	;; [unrolled: 1-line block ×3, first 2 shown]
	v_fma_f16 v7, v7, -0.5, v50
	v_add_f16_e32 v47, v47, v34
	v_sub_f16_e32 v34, v72, v34
	v_fma_f16 v50, v34, s5, v7
	v_fma_f16 v7, v34, s4, v7
	v_add_f16_e32 v34, v58, v60
	v_fma_f16 v34, v34, -0.5, v46
	v_sub_f16_e32 v53, v23, v59
	v_fma_f16 v54, v53, s4, v34
	v_fma_f16 v34, v53, s5, v34
	v_lshrrev_b32_e32 v53, 16, v46
	v_add_f16_e32 v49, v49, v55
	v_add_f16_e32 v55, v53, v23
	;; [unrolled: 1-line block ×5, first 2 shown]
	v_fma_f16 v23, v23, -0.5, v53
	v_sub_f16_e32 v53, v58, v60
	v_pack_b32_f16 v0, v0, v19
	v_fma_f16 v56, v53, s5, v23
	v_fma_f16 v23, v53, s4, v23
	v_add_f16_e32 v53, v73, v13
	v_pack_b32_f16 v29, v35, v29
	v_pack_b32_f16 v27, v27, v40
	ds_write_b32 v39, v0 offset:10800
	v_pack_b32_f16 v0, v41, v49
	v_add_f16_e32 v52, v52, v57
	v_add_f16_e32 v46, v46, v58
	v_fma_f16 v53, v53, -0.5, v28
	v_sub_f16_e32 v57, v61, v62
	ds_write_b32 v39, v29
	ds_write_b32 v39, v27 offset:5400
	ds_write_b32 v38, v0
	v_pack_b32_f16 v0, v45, v48
	v_add_f16_e32 v46, v46, v60
	v_fma_f16 v58, v57, s4, v53
	v_fma_f16 v53, v57, s5, v53
	v_lshrrev_b32_e32 v57, 16, v28
	v_add_f16_e32 v60, v61, v62
	v_add_f16_e32 v28, v28, v73
	ds_write_b32 v38, v0 offset:5400
	v_pack_b32_f16 v0, v31, v6
	v_add_f16_e32 v55, v55, v59
	v_add_f16_e32 v59, v57, v61
	v_fma_f16 v57, v60, -0.5, v57
	v_add_f16_e32 v28, v28, v13
	v_sub_f16_e32 v13, v73, v13
	ds_write_b32 v38, v0 offset:10800
	v_pack_b32_f16 v0, v47, v52
	v_fma_f16 v60, v13, s5, v57
	v_fma_f16 v13, v13, s4, v57
	v_add_f16_e32 v57, v4, v2
	ds_write_b32 v37, v0
	v_pack_b32_f16 v0, v51, v50
	v_fma_f16 v57, v57, -0.5, v26
	v_sub_f16_e32 v61, v33, v74
	ds_write_b32 v37, v0 offset:5400
	v_pack_b32_f16 v0, v17, v7
	v_add_f16_e32 v59, v59, v62
	v_fma_f16 v62, v61, s4, v57
	v_fma_f16 v57, v61, s5, v57
	v_lshrrev_b32_e32 v61, 16, v26
	ds_write_b32 v37, v0 offset:10800
	v_pack_b32_f16 v0, v46, v55
	v_add_f16_e32 v63, v61, v33
	v_add_f16_e32 v33, v33, v74
	;; [unrolled: 1-line block ×3, first 2 shown]
	ds_write_b32 v36, v0
	v_pack_b32_f16 v0, v54, v56
	v_fma_f16 v33, v33, -0.5, v61
	v_add_f16_e32 v26, v26, v2
	v_sub_f16_e32 v2, v4, v2
	ds_write_b32 v36, v0 offset:5400
	v_pack_b32_f16 v0, v34, v23
	v_fma_f16 v4, v2, s5, v33
	v_fma_f16 v2, v2, s4, v33
	v_add_f16_e32 v33, v64, v65
	ds_write_b32 v36, v0 offset:10800
	v_pack_b32_f16 v0, v28, v59
	v_fma_f16 v33, v33, -0.5, v68
	v_sub_f16_e32 v61, v5, v3
	ds_write_b32 v44, v0
	v_pack_b32_f16 v0, v58, v60
	v_add_f16_e32 v63, v63, v74
	v_fma_f16 v66, v61, s4, v33
	v_fma_f16 v33, v61, s5, v33
	v_lshrrev_b32_e32 v61, 16, v68
	ds_write_b32 v44, v0 offset:5400
	v_pack_b32_f16 v0, v53, v13
	v_add_f16_e32 v67, v61, v5
	ds_write_b32 v44, v0 offset:10800
	v_pack_b32_f16 v0, v26, v63
	v_add_f16_e32 v67, v67, v3
	v_add_f16_e32 v3, v5, v3
	;; [unrolled: 1-line block ×3, first 2 shown]
	ds_write_b32 v43, v0
	v_pack_b32_f16 v0, v62, v4
	v_fma_f16 v3, v3, -0.5, v61
	v_add_f16_e32 v5, v5, v65
	v_sub_f16_e32 v61, v64, v65
	ds_write_b32 v43, v0 offset:5400
	v_pack_b32_f16 v0, v57, v2
	v_fma_f16 v64, v61, s5, v3
	ds_write_b32 v43, v0 offset:10800
	v_pack_b32_f16 v0, v5, v67
	v_fma_f16 v3, v61, s4, v3
	ds_write_b32 v42, v0
	v_pack_b32_f16 v0, v66, v64
	ds_write_b32 v42, v0 offset:5400
	v_pack_b32_f16 v0, v33, v3
	ds_write_b32 v42, v0 offset:10800
	s_waitcnt lgkmcnt(0)
	s_barrier
	ds_read_b32 v6, v30
	s_add_u32 s6, s8, 0x3f20
	s_addc_u32 s7, s9, 0
	v_sub_u32_e32 v0, 0, v9
	v_cmp_ne_u32_e64 s[0:1], 0, v8
                                        ; implicit-def: $vgpr3
                                        ; implicit-def: $vgpr2
                                        ; implicit-def: $vgpr4
	s_and_saveexec_b64 s[4:5], s[0:1]
	s_xor_b64 s[4:5], exec, s[4:5]
	s_cbranch_execz .LBB0_15
; %bb.14:
	v_mov_b32_e32 v9, v1
	v_lshlrev_b64 v[1:2], 2, v[8:9]
	v_mov_b32_e32 v3, s7
	v_add_co_u32_e64 v1, s[0:1], s6, v1
	v_addc_co_u32_e64 v2, s[0:1], v3, v2, s[0:1]
	global_load_dword v1, v[1:2], off
	ds_read_b32 v2, v0 offset:16200
	s_waitcnt lgkmcnt(0)
	v_add_f16_sdwa v4, v2, v6 dst_sel:DWORD dst_unused:UNUSED_PAD src0_sel:WORD_1 src1_sel:WORD_1
	v_sub_f16_e32 v5, v6, v2
	v_add_f16_e32 v3, v2, v6
	v_sub_f16_sdwa v2, v6, v2 dst_sel:DWORD dst_unused:UNUSED_PAD src0_sel:WORD_1 src1_sel:WORD_1
	v_mul_f16_e32 v6, 0.5, v4
	v_mul_f16_e32 v5, 0.5, v5
	;; [unrolled: 1-line block ×3, first 2 shown]
	s_waitcnt vmcnt(0)
	v_lshrrev_b32_e32 v4, 16, v1
	v_mul_f16_e32 v7, v4, v5
	v_fma_f16 v9, v6, v4, v2
	v_fma_f16 v13, v6, v4, -v2
	v_fma_f16 v2, v3, 0.5, v7
	v_fma_f16 v3, v3, 0.5, -v7
	v_fma_f16 v7, v1, v6, v2
	v_fma_f16 v4, -v1, v5, v9
	v_fma_f16 v2, -v1, v6, v3
	ds_write_b16 v30, v7
	v_fma_f16 v3, -v1, v5, v13
                                        ; implicit-def: $vgpr6
.LBB0_15:
	s_or_saveexec_b64 s[0:1], s[4:5]
	v_mul_i32_i24_e32 v1, 0xffffffdc, v12
	v_mul_i32_i24_e32 v5, 0xffffffdc, v25
	s_xor_b64 exec, exec, s[0:1]
	s_cbranch_execz .LBB0_17
; %bb.16:
	v_mov_b32_e32 v4, 0
	ds_read_u16 v3, v4 offset:8102
	s_waitcnt lgkmcnt(1)
	v_add_f16_sdwa v7, v6, v6 dst_sel:DWORD dst_unused:UNUSED_PAD src0_sel:WORD_1 src1_sel:DWORD
	v_sub_f16_sdwa v2, v6, v6 dst_sel:DWORD dst_unused:UNUSED_PAD src0_sel:DWORD src1_sel:WORD_1
	ds_write_b16 v30, v7
	s_waitcnt lgkmcnt(1)
	v_xor_b32_e32 v3, 0x8000, v3
	ds_write_b16 v4, v3 offset:8102
	v_mov_b32_e32 v3, 0
.LBB0_17:
	s_or_b64 exec, exec, s[0:1]
	v_mov_b32_e32 v13, 0
	s_waitcnt lgkmcnt(0)
	v_lshlrev_b64 v[6:7], 2, v[12:13]
	v_mov_b32_e32 v9, s7
	v_add_co_u32_e64 v6, s[0:1], s6, v6
	v_addc_co_u32_e64 v7, s[0:1], v9, v7, s[0:1]
	global_load_dword v9, v[6:7], off
	v_mov_b32_e32 v26, v13
	v_lshlrev_b64 v[6:7], 2, v[25:26]
	v_mov_b32_e32 v12, s7
	v_add_co_u32_e64 v6, s[0:1], s6, v6
	v_addc_co_u32_e64 v7, s[0:1], v12, v7, s[0:1]
	global_load_dword v7, v[6:7], off
	s_mov_b32 s0, 0x5040100
	v_add_u32_e32 v12, v21, v1
	v_perm_b32 v1, v3, v2, s0
	v_mov_b32_e32 v17, v13
	ds_write_b16 v30, v4 offset:2
	ds_write_b32 v0, v1 offset:16200
	v_lshlrev_b64 v[1:2], 2, v[16:17]
	v_mov_b32_e32 v27, s7
	v_add_co_u32_e64 v1, s[0:1], s6, v1
	v_mov_b32_e32 v21, v13
	v_addc_co_u32_e64 v2, s[0:1], v27, v2, s[0:1]
	v_lshlrev_b64 v[16:17], 2, v[20:21]
	global_load_dword v21, v[1:2], off
	ds_read_b32 v33, v0 offset:15660
	ds_read_b32 v20, v12
	s_mov_b32 s4, 0xffff
	v_mov_b32_e32 v19, v13
	v_mov_b32_e32 v23, v13
	v_add_u32_e32 v26, v32, v5
	s_waitcnt lgkmcnt(0)
	v_pk_add_f16 v1, v20, v33 neg_lo:[0,1] neg_hi:[0,1]
	v_pk_add_f16 v2, v20, v33
	v_bfi_b32 v20, s4, v1, v2
	v_bfi_b32 v1, s4, v2, v1
	v_pk_mul_f16 v2, v20, 0.5 op_sel_hi:[1,0]
	v_pk_mul_f16 v1, v1, 0.5 op_sel_hi:[1,0]
	v_lshlrev_b64 v[3:4], 2, v[18:19]
	v_lshlrev_b64 v[5:6], 2, v[22:23]
	v_mov_b32_e32 v28, s7
	v_add_co_u32_e64 v3, s[0:1], s6, v3
	v_addc_co_u32_e64 v4, s[0:1], v28, v4, s[0:1]
	v_mov_b32_e32 v29, s7
	v_mov_b32_e32 v31, s7
	;; [unrolled: 1-line block ×3, first 2 shown]
	v_lshlrev_b64 v[18:19], 2, v[24:25]
	v_mov_b32_e32 v32, s7
	s_waitcnt vmcnt(2)
	v_pk_fma_f16 v20, v9, v2, v1 op_sel:[1,0,0]
	v_pk_mul_f16 v22, v9, v2 op_sel_hi:[0,1]
	v_pk_fma_f16 v23, v9, v2, v1 op_sel:[1,0,0] neg_lo:[1,0,0] neg_hi:[1,0,0]
	v_pk_fma_f16 v1, v9, v2, v1 op_sel:[1,0,0] neg_lo:[0,0,1] neg_hi:[0,0,1]
	v_pk_add_f16 v2, v20, v22 op_sel:[0,1] op_sel_hi:[1,0]
	v_pk_add_f16 v9, v20, v22 op_sel:[0,1] op_sel_hi:[1,0] neg_lo:[0,1] neg_hi:[0,1]
	v_pk_add_f16 v20, v23, v22 op_sel:[0,1] op_sel_hi:[1,0] neg_lo:[0,1] neg_hi:[0,1]
	;; [unrolled: 1-line block ×3, first 2 shown]
	v_bfi_b32 v2, s4, v2, v9
	v_bfi_b32 v1, s4, v20, v1
	ds_write_b32 v12, v2
	ds_write_b32 v0, v1 offset:15660
	ds_read_b32 v9, v26
	ds_read_b32 v12, v0 offset:15120
	global_load_dword v20, v[3:4], off
	v_add_co_u32_e64 v1, s[0:1], s6, v5
	v_addc_co_u32_e64 v2, s[0:1], v29, v6, s[0:1]
	s_waitcnt lgkmcnt(0)
	v_pk_add_f16 v3, v9, v12 neg_lo:[0,1] neg_hi:[0,1]
	v_pk_add_f16 v4, v9, v12
	v_bfi_b32 v5, s4, v3, v4
	v_bfi_b32 v3, s4, v4, v3
	v_pk_mul_f16 v4, v5, 0.5 op_sel_hi:[1,0]
	v_pk_mul_f16 v3, v3, 0.5 op_sel_hi:[1,0]
	s_waitcnt vmcnt(2)
	v_pk_fma_f16 v5, v7, v4, v3 op_sel:[1,0,0]
	v_pk_mul_f16 v6, v7, v4 op_sel_hi:[0,1]
	v_pk_fma_f16 v9, v7, v4, v3 op_sel:[1,0,0] neg_lo:[1,0,0] neg_hi:[1,0,0]
	v_pk_fma_f16 v3, v7, v4, v3 op_sel:[1,0,0] neg_lo:[0,0,1] neg_hi:[0,0,1]
	v_pk_add_f16 v4, v5, v6 op_sel:[0,1] op_sel_hi:[1,0]
	v_pk_add_f16 v5, v5, v6 op_sel:[0,1] op_sel_hi:[1,0] neg_lo:[0,1] neg_hi:[0,1]
	v_pk_add_f16 v7, v9, v6 op_sel:[0,1] op_sel_hi:[1,0] neg_lo:[0,1] neg_hi:[0,1]
	;; [unrolled: 1-line block ×3, first 2 shown]
	v_bfi_b32 v4, s4, v4, v5
	v_bfi_b32 v3, s4, v7, v3
	ds_write_b32 v26, v4
	ds_write_b32 v0, v3 offset:15120
	v_add_co_u32_e64 v3, s[0:1], s6, v16
	ds_read_b32 v5, v39
	ds_read_b32 v6, v0 offset:14580
	v_addc_co_u32_e64 v4, s[0:1], v31, v17, s[0:1]
	global_load_dword v7, v[1:2], off
	global_load_dword v9, v[3:4], off
	v_mov_b32_e32 v16, v13
	s_waitcnt lgkmcnt(0)
	v_pk_add_f16 v1, v5, v6 neg_lo:[0,1] neg_hi:[0,1]
	v_pk_add_f16 v2, v5, v6
	v_bfi_b32 v3, s4, v1, v2
	v_bfi_b32 v1, s4, v2, v1
	v_pk_mul_f16 v17, v3, 0.5 op_sel_hi:[1,0]
	v_pk_mul_f16 v22, v1, 0.5 op_sel_hi:[1,0]
	v_add_co_u32_e64 v1, s[0:1], s6, v18
	v_lshlrev_b64 v[3:4], 2, v[15:16]
	v_addc_co_u32_e64 v2, s[0:1], v32, v19, s[0:1]
	v_mov_b32_e32 v5, s7
	v_add_co_u32_e64 v3, s[0:1], s6, v3
	v_mov_b32_e32 v15, v13
	v_addc_co_u32_e64 v4, s[0:1], v5, v4, s[0:1]
	v_lshlrev_b64 v[5:6], 2, v[14:15]
	v_mov_b32_e32 v12, s7
	v_add_co_u32_e64 v5, s[0:1], s6, v5
	v_addc_co_u32_e64 v6, s[0:1], v12, v6, s[0:1]
	v_add_u32_e32 v12, 0x546, v8
	v_lshlrev_b64 v[14:15], 2, v[12:13]
	v_mov_b32_e32 v12, s7
	v_add_co_u32_e64 v14, s[0:1], s6, v14
	v_addc_co_u32_e64 v15, s[0:1], v12, v15, s[0:1]
	global_load_dword v12, v[1:2], off
	global_load_dword v16, v[3:4], off
	;; [unrolled: 1-line block ×4, first 2 shown]
	s_waitcnt vmcnt(7)
	v_pk_fma_f16 v1, v21, v17, v22 op_sel:[1,0,0]
	v_pk_mul_f16 v2, v21, v17 op_sel_hi:[0,1]
	v_pk_add_f16 v3, v1, v2 op_sel:[0,1] op_sel_hi:[1,0]
	v_pk_add_f16 v1, v1, v2 op_sel:[0,1] op_sel_hi:[1,0] neg_lo:[0,1] neg_hi:[0,1]
	v_bfi_b32 v1, s4, v3, v1
	ds_write_b32 v39, v1
	v_pk_fma_f16 v1, v21, v17, v22 op_sel:[1,0,0] neg_lo:[1,0,0] neg_hi:[1,0,0]
	v_pk_fma_f16 v3, v21, v17, v22 op_sel:[1,0,0] neg_lo:[0,0,1] neg_hi:[0,0,1]
	v_pk_add_f16 v1, v1, v2 op_sel:[0,1] op_sel_hi:[1,0] neg_lo:[0,1] neg_hi:[0,1]
	v_pk_add_f16 v2, v3, v2 op_sel:[0,1] op_sel_hi:[1,0] neg_lo:[0,1] neg_hi:[0,1]
	v_bfi_b32 v1, s4, v1, v2
	ds_write_b32 v0, v1 offset:14580
	ds_read_b32 v1, v38
	ds_read_b32 v2, v0 offset:14040
	s_waitcnt lgkmcnt(0)
	v_pk_add_f16 v3, v1, v2 neg_lo:[0,1] neg_hi:[0,1]
	v_pk_add_f16 v1, v1, v2
	v_bfi_b32 v2, s4, v3, v1
	v_bfi_b32 v1, s4, v1, v3
	v_pk_mul_f16 v2, v2, 0.5 op_sel_hi:[1,0]
	v_pk_mul_f16 v1, v1, 0.5 op_sel_hi:[1,0]
	s_waitcnt vmcnt(6)
	v_pk_fma_f16 v3, v20, v2, v1 op_sel:[1,0,0]
	v_pk_mul_f16 v4, v20, v2 op_sel_hi:[0,1]
	v_pk_add_f16 v5, v3, v4 op_sel:[0,1] op_sel_hi:[1,0]
	v_pk_add_f16 v3, v3, v4 op_sel:[0,1] op_sel_hi:[1,0] neg_lo:[0,1] neg_hi:[0,1]
	v_bfi_b32 v3, s4, v5, v3
	ds_write_b32 v38, v3
	v_pk_fma_f16 v3, v20, v2, v1 op_sel:[1,0,0] neg_lo:[1,0,0] neg_hi:[1,0,0]
	v_pk_fma_f16 v1, v20, v2, v1 op_sel:[1,0,0] neg_lo:[0,0,1] neg_hi:[0,0,1]
	v_pk_add_f16 v3, v3, v4 op_sel:[0,1] op_sel_hi:[1,0] neg_lo:[0,1] neg_hi:[0,1]
	v_pk_add_f16 v1, v1, v4 op_sel:[0,1] op_sel_hi:[1,0] neg_lo:[0,1] neg_hi:[0,1]
	v_bfi_b32 v1, s4, v3, v1
	ds_write_b32 v0, v1 offset:14040
	ds_read_b32 v1, v37
	ds_read_b32 v2, v0 offset:13500
	s_waitcnt lgkmcnt(0)
	v_pk_add_f16 v3, v1, v2 neg_lo:[0,1] neg_hi:[0,1]
	v_pk_add_f16 v1, v1, v2
	v_bfi_b32 v2, s4, v3, v1
	v_bfi_b32 v1, s4, v1, v3
	v_pk_mul_f16 v2, v2, 0.5 op_sel_hi:[1,0]
	v_pk_mul_f16 v1, v1, 0.5 op_sel_hi:[1,0]
	s_waitcnt vmcnt(5)
	v_pk_fma_f16 v3, v7, v2, v1 op_sel:[1,0,0]
	v_pk_mul_f16 v4, v7, v2 op_sel_hi:[0,1]
	v_pk_add_f16 v5, v3, v4 op_sel:[0,1] op_sel_hi:[1,0]
	v_pk_add_f16 v3, v3, v4 op_sel:[0,1] op_sel_hi:[1,0] neg_lo:[0,1] neg_hi:[0,1]
	v_bfi_b32 v3, s4, v5, v3
	ds_write_b32 v37, v3
	v_pk_fma_f16 v3, v7, v2, v1 op_sel:[1,0,0] neg_lo:[1,0,0] neg_hi:[1,0,0]
	v_pk_fma_f16 v1, v7, v2, v1 op_sel:[1,0,0] neg_lo:[0,0,1] neg_hi:[0,0,1]
	v_pk_add_f16 v3, v3, v4 op_sel:[0,1] op_sel_hi:[1,0] neg_lo:[0,1] neg_hi:[0,1]
	v_pk_add_f16 v1, v1, v4 op_sel:[0,1] op_sel_hi:[1,0] neg_lo:[0,1] neg_hi:[0,1]
	v_bfi_b32 v1, s4, v3, v1
	ds_write_b32 v0, v1 offset:13500
	ds_read_b32 v1, v36
	ds_read_b32 v2, v0 offset:12960
	v_mov_b32_e32 v7, s7
	s_waitcnt lgkmcnt(0)
	v_pk_add_f16 v3, v1, v2 neg_lo:[0,1] neg_hi:[0,1]
	v_pk_add_f16 v1, v1, v2
	v_bfi_b32 v2, s4, v3, v1
	v_bfi_b32 v1, s4, v1, v3
	v_pk_mul_f16 v2, v2, 0.5 op_sel_hi:[1,0]
	v_pk_mul_f16 v1, v1, 0.5 op_sel_hi:[1,0]
	s_waitcnt vmcnt(4)
	v_pk_fma_f16 v3, v9, v2, v1 op_sel:[1,0,0]
	v_pk_mul_f16 v4, v9, v2 op_sel_hi:[0,1]
	v_pk_add_f16 v5, v3, v4 op_sel:[0,1] op_sel_hi:[1,0]
	v_pk_add_f16 v3, v3, v4 op_sel:[0,1] op_sel_hi:[1,0] neg_lo:[0,1] neg_hi:[0,1]
	v_bfi_b32 v3, s4, v5, v3
	ds_write_b32 v36, v3
	v_pk_fma_f16 v3, v9, v2, v1 op_sel:[1,0,0] neg_lo:[1,0,0] neg_hi:[1,0,0]
	v_pk_fma_f16 v1, v9, v2, v1 op_sel:[1,0,0] neg_lo:[0,0,1] neg_hi:[0,0,1]
	v_pk_add_f16 v3, v3, v4 op_sel:[0,1] op_sel_hi:[1,0] neg_lo:[0,1] neg_hi:[0,1]
	v_pk_add_f16 v1, v1, v4 op_sel:[0,1] op_sel_hi:[1,0] neg_lo:[0,1] neg_hi:[0,1]
	v_bfi_b32 v1, s4, v3, v1
	ds_write_b32 v0, v1 offset:12960
	ds_read_b32 v1, v44
	ds_read_b32 v2, v0 offset:12420
	s_waitcnt lgkmcnt(0)
	v_pk_add_f16 v3, v1, v2 neg_lo:[0,1] neg_hi:[0,1]
	v_pk_add_f16 v1, v1, v2
	v_bfi_b32 v2, s4, v3, v1
	v_bfi_b32 v1, s4, v1, v3
	v_pk_mul_f16 v2, v2, 0.5 op_sel_hi:[1,0]
	v_pk_mul_f16 v1, v1, 0.5 op_sel_hi:[1,0]
	s_waitcnt vmcnt(3)
	v_pk_fma_f16 v3, v12, v2, v1 op_sel:[1,0,0]
	v_pk_mul_f16 v4, v12, v2 op_sel_hi:[0,1]
	v_pk_add_f16 v5, v3, v4 op_sel:[0,1] op_sel_hi:[1,0]
	v_pk_add_f16 v3, v3, v4 op_sel:[0,1] op_sel_hi:[1,0] neg_lo:[0,1] neg_hi:[0,1]
	v_bfi_b32 v3, s4, v5, v3
	ds_write_b32 v44, v3
	v_pk_fma_f16 v3, v12, v2, v1 op_sel:[1,0,0] neg_lo:[1,0,0] neg_hi:[1,0,0]
	v_pk_fma_f16 v1, v12, v2, v1 op_sel:[1,0,0] neg_lo:[0,0,1] neg_hi:[0,0,1]
	v_pk_add_f16 v3, v3, v4 op_sel:[0,1] op_sel_hi:[1,0] neg_lo:[0,1] neg_hi:[0,1]
	v_pk_add_f16 v1, v1, v4 op_sel:[0,1] op_sel_hi:[1,0] neg_lo:[0,1] neg_hi:[0,1]
	v_bfi_b32 v1, s4, v3, v1
	ds_write_b32 v0, v1 offset:12420
	ds_read_b32 v1, v43
	ds_read_b32 v2, v0 offset:11880
	v_add_u32_e32 v12, 0x5cd, v8
	s_waitcnt lgkmcnt(0)
	v_pk_add_f16 v3, v1, v2 neg_lo:[0,1] neg_hi:[0,1]
	v_pk_add_f16 v1, v1, v2
	v_bfi_b32 v2, s4, v3, v1
	v_bfi_b32 v1, s4, v1, v3
	v_pk_mul_f16 v2, v2, 0.5 op_sel_hi:[1,0]
	v_pk_mul_f16 v1, v1, 0.5 op_sel_hi:[1,0]
	s_waitcnt vmcnt(2)
	v_pk_fma_f16 v3, v16, v2, v1 op_sel:[1,0,0]
	v_pk_mul_f16 v4, v16, v2 op_sel_hi:[0,1]
	v_pk_add_f16 v5, v3, v4 op_sel:[0,1] op_sel_hi:[1,0]
	v_pk_add_f16 v3, v3, v4 op_sel:[0,1] op_sel_hi:[1,0] neg_lo:[0,1] neg_hi:[0,1]
	v_bfi_b32 v3, s4, v5, v3
	ds_write_b32 v43, v3
	v_pk_fma_f16 v3, v16, v2, v1 op_sel:[1,0,0] neg_lo:[1,0,0] neg_hi:[1,0,0]
	v_pk_fma_f16 v1, v16, v2, v1 op_sel:[1,0,0] neg_lo:[0,0,1] neg_hi:[0,0,1]
	v_pk_add_f16 v3, v3, v4 op_sel:[0,1] op_sel_hi:[1,0] neg_lo:[0,1] neg_hi:[0,1]
	v_pk_add_f16 v1, v1, v4 op_sel:[0,1] op_sel_hi:[1,0] neg_lo:[0,1] neg_hi:[0,1]
	v_bfi_b32 v1, s4, v3, v1
	ds_write_b32 v0, v1 offset:11880
	v_lshlrev_b64 v[1:2], 2, v[12:13]
	v_mov_b32_e32 v5, s7
	v_add_co_u32_e64 v1, s[0:1], s6, v1
	v_addc_co_u32_e64 v2, s[0:1], v5, v2, s[0:1]
	ds_read_b32 v3, v42
	ds_read_b32 v4, v0 offset:11340
	global_load_dword v5, v[1:2], off
	v_add_u32_e32 v12, 0x654, v8
	s_waitcnt lgkmcnt(0)
	v_pk_add_f16 v1, v3, v4 neg_lo:[0,1] neg_hi:[0,1]
	v_pk_add_f16 v2, v3, v4
	v_bfi_b32 v3, s4, v1, v2
	v_bfi_b32 v1, s4, v2, v1
	v_pk_mul_f16 v3, v3, 0.5 op_sel_hi:[1,0]
	v_pk_mul_f16 v4, v1, 0.5 op_sel_hi:[1,0]
	s_waitcnt vmcnt(2)
	v_pk_fma_f16 v1, v18, v3, v4 op_sel:[1,0,0]
	v_pk_mul_f16 v6, v18, v3 op_sel_hi:[0,1]
	v_pk_add_f16 v2, v1, v6 op_sel:[0,1] op_sel_hi:[1,0]
	v_pk_add_f16 v1, v1, v6 op_sel:[0,1] op_sel_hi:[1,0] neg_lo:[0,1] neg_hi:[0,1]
	v_bfi_b32 v1, s4, v2, v1
	ds_write_b32 v42, v1
	v_lshlrev_b64 v[1:2], 2, v[12:13]
	v_add_u32_e32 v12, 0x6db, v8
	v_add_co_u32_e64 v1, s[0:1], s6, v1
	v_addc_co_u32_e64 v2, s[0:1], v7, v2, s[0:1]
	global_load_dword v7, v[1:2], off
	v_pk_fma_f16 v1, v18, v3, v4 op_sel:[1,0,0] neg_lo:[1,0,0] neg_hi:[1,0,0]
	v_pk_fma_f16 v2, v18, v3, v4 op_sel:[1,0,0] neg_lo:[0,0,1] neg_hi:[0,0,1]
	v_pk_add_f16 v1, v1, v6 op_sel:[0,1] op_sel_hi:[1,0] neg_lo:[0,1] neg_hi:[0,1]
	v_pk_add_f16 v2, v2, v6 op_sel:[0,1] op_sel_hi:[1,0] neg_lo:[0,1] neg_hi:[0,1]
	v_bfi_b32 v1, s4, v1, v2
	ds_write_b32 v0, v1 offset:11340
	ds_read_b32 v1, v30 offset:5400
	ds_read_b32 v2, v0 offset:10800
	v_mov_b32_e32 v6, s7
	s_waitcnt lgkmcnt(0)
	v_pk_add_f16 v3, v1, v2 neg_lo:[0,1] neg_hi:[0,1]
	v_pk_add_f16 v1, v1, v2
	v_bfi_b32 v4, s4, v3, v1
	v_bfi_b32 v3, s4, v1, v3
	v_lshlrev_b64 v[1:2], 2, v[12:13]
	v_add_u32_e32 v12, 0x762, v8
	v_add_co_u32_e64 v1, s[0:1], s6, v1
	v_addc_co_u32_e64 v2, s[0:1], v6, v2, s[0:1]
	global_load_dword v6, v[1:2], off
	v_pk_mul_f16 v1, v4, 0.5 op_sel_hi:[1,0]
	v_pk_mul_f16 v2, v3, 0.5 op_sel_hi:[1,0]
	s_waitcnt vmcnt(3)
	v_pk_fma_f16 v3, v19, v1, v2 op_sel:[1,0,0]
	v_pk_mul_f16 v4, v19, v1 op_sel_hi:[0,1]
	v_pk_add_f16 v9, v3, v4 op_sel:[0,1] op_sel_hi:[1,0]
	v_pk_add_f16 v3, v3, v4 op_sel:[0,1] op_sel_hi:[1,0] neg_lo:[0,1] neg_hi:[0,1]
	v_bfi_b32 v3, s4, v9, v3
	ds_write_b32 v30, v3 offset:5400
	v_pk_fma_f16 v3, v19, v1, v2 op_sel:[1,0,0] neg_lo:[1,0,0] neg_hi:[1,0,0]
	v_pk_fma_f16 v1, v19, v1, v2 op_sel:[1,0,0] neg_lo:[0,0,1] neg_hi:[0,0,1]
	v_pk_add_f16 v3, v3, v4 op_sel:[0,1] op_sel_hi:[1,0] neg_lo:[0,1] neg_hi:[0,1]
	v_pk_add_f16 v1, v1, v4 op_sel:[0,1] op_sel_hi:[1,0] neg_lo:[0,1] neg_hi:[0,1]
	v_bfi_b32 v1, s4, v3, v1
	ds_write_b32 v0, v1 offset:10800
	v_lshlrev_b64 v[1:2], 2, v[12:13]
	v_mov_b32_e32 v9, s7
	v_add_co_u32_e64 v1, s[0:1], s6, v1
	v_addc_co_u32_e64 v2, s[0:1], v9, v2, s[0:1]
	ds_read_b32 v3, v30 offset:5940
	ds_read_b32 v4, v0 offset:10260
	global_load_dword v1, v[1:2], off
	s_waitcnt lgkmcnt(0)
	v_pk_add_f16 v2, v3, v4 neg_lo:[0,1] neg_hi:[0,1]
	v_pk_add_f16 v3, v3, v4
	v_bfi_b32 v4, s4, v2, v3
	v_bfi_b32 v2, s4, v3, v2
	v_pk_mul_f16 v3, v4, 0.5 op_sel_hi:[1,0]
	v_pk_mul_f16 v2, v2, 0.5 op_sel_hi:[1,0]
	s_waitcnt vmcnt(3)
	v_pk_fma_f16 v4, v5, v3, v2 op_sel:[1,0,0]
	v_pk_mul_f16 v9, v5, v3 op_sel_hi:[0,1]
	v_pk_add_f16 v12, v4, v9 op_sel:[0,1] op_sel_hi:[1,0]
	v_pk_add_f16 v4, v4, v9 op_sel:[0,1] op_sel_hi:[1,0] neg_lo:[0,1] neg_hi:[0,1]
	v_bfi_b32 v4, s4, v12, v4
	ds_write_b32 v30, v4 offset:5940
	v_pk_fma_f16 v4, v5, v3, v2 op_sel:[1,0,0] neg_lo:[1,0,0] neg_hi:[1,0,0]
	v_pk_fma_f16 v2, v5, v3, v2 op_sel:[1,0,0] neg_lo:[0,0,1] neg_hi:[0,0,1]
	v_pk_add_f16 v4, v4, v9 op_sel:[0,1] op_sel_hi:[1,0] neg_lo:[0,1] neg_hi:[0,1]
	v_pk_add_f16 v2, v2, v9 op_sel:[0,1] op_sel_hi:[1,0] neg_lo:[0,1] neg_hi:[0,1]
	v_bfi_b32 v2, s4, v4, v2
	ds_write_b32 v0, v2 offset:10260
	ds_read_b32 v2, v30 offset:6480
	ds_read_b32 v3, v0 offset:9720
	s_waitcnt lgkmcnt(0)
	v_pk_add_f16 v4, v2, v3 neg_lo:[0,1] neg_hi:[0,1]
	v_pk_add_f16 v2, v2, v3
	v_bfi_b32 v3, s4, v4, v2
	v_bfi_b32 v2, s4, v2, v4
	v_pk_mul_f16 v3, v3, 0.5 op_sel_hi:[1,0]
	v_pk_mul_f16 v2, v2, 0.5 op_sel_hi:[1,0]
	s_waitcnt vmcnt(2)
	v_pk_fma_f16 v4, v7, v3, v2 op_sel:[1,0,0]
	v_pk_mul_f16 v5, v7, v3 op_sel_hi:[0,1]
	v_pk_add_f16 v9, v4, v5 op_sel:[0,1] op_sel_hi:[1,0]
	v_pk_add_f16 v4, v4, v5 op_sel:[0,1] op_sel_hi:[1,0] neg_lo:[0,1] neg_hi:[0,1]
	v_bfi_b32 v4, s4, v9, v4
	ds_write_b32 v30, v4 offset:6480
	v_pk_fma_f16 v4, v7, v3, v2 op_sel:[1,0,0] neg_lo:[1,0,0] neg_hi:[1,0,0]
	v_pk_fma_f16 v2, v7, v3, v2 op_sel:[1,0,0] neg_lo:[0,0,1] neg_hi:[0,0,1]
	v_pk_add_f16 v4, v4, v5 op_sel:[0,1] op_sel_hi:[1,0] neg_lo:[0,1] neg_hi:[0,1]
	v_pk_add_f16 v2, v2, v5 op_sel:[0,1] op_sel_hi:[1,0] neg_lo:[0,1] neg_hi:[0,1]
	v_bfi_b32 v2, s4, v4, v2
	ds_write_b32 v0, v2 offset:9720
	ds_read_b32 v2, v30 offset:7020
	ds_read_b32 v3, v0 offset:9180
	;; [unrolled: 22-line block ×3, first 2 shown]
	s_waitcnt lgkmcnt(0)
	v_pk_add_f16 v4, v2, v3 neg_lo:[0,1] neg_hi:[0,1]
	v_pk_add_f16 v2, v2, v3
	v_bfi_b32 v3, s4, v4, v2
	v_bfi_b32 v2, s4, v2, v4
	v_pk_mul_f16 v3, v3, 0.5 op_sel_hi:[1,0]
	v_pk_mul_f16 v2, v2, 0.5 op_sel_hi:[1,0]
	s_waitcnt vmcnt(0)
	v_pk_fma_f16 v4, v1, v3, v2 op_sel:[1,0,0]
	v_pk_mul_f16 v5, v1, v3 op_sel_hi:[0,1]
	v_pk_add_f16 v6, v4, v5 op_sel:[0,1] op_sel_hi:[1,0]
	v_pk_add_f16 v4, v4, v5 op_sel:[0,1] op_sel_hi:[1,0] neg_lo:[0,1] neg_hi:[0,1]
	v_bfi_b32 v4, s4, v6, v4
	ds_write_b32 v30, v4 offset:7560
	v_pk_fma_f16 v4, v1, v3, v2 op_sel:[1,0,0] neg_lo:[1,0,0] neg_hi:[1,0,0]
	v_pk_fma_f16 v1, v1, v3, v2 op_sel:[1,0,0] neg_lo:[0,0,1] neg_hi:[0,0,1]
	v_pk_add_f16 v4, v4, v5 op_sel:[0,1] op_sel_hi:[1,0] neg_lo:[0,1] neg_hi:[0,1]
	v_pk_add_f16 v1, v1, v5 op_sel:[0,1] op_sel_hi:[1,0] neg_lo:[0,1] neg_hi:[0,1]
	v_bfi_b32 v1, s4, v4, v1
	ds_write_b32 v0, v1 offset:8640
	s_waitcnt lgkmcnt(0)
	s_barrier
	s_and_saveexec_b64 s[0:1], vcc
	s_cbranch_execz .LBB0_20
; %bb.18:
	v_mov_b32_e32 v9, v13
	ds_read2_b32 v[2:3], v30 offset1:135
	v_mov_b32_e32 v0, s3
	v_add_co_u32_e32 v1, vcc, s2, v10
	v_lshlrev_b64 v[4:5], 2, v[8:9]
	v_addc_co_u32_e32 v0, vcc, v0, v11, vcc
	v_add_co_u32_e32 v4, vcc, v1, v4
	v_addc_co_u32_e32 v5, vcc, v0, v5, vcc
	s_waitcnt lgkmcnt(0)
	global_store_dword v[4:5], v2, off
	global_store_dword v[4:5], v3, off offset:540
	v_add_u32_e32 v2, 0x400, v30
	ds_read2_b32 v[2:3], v2 offset0:14 offset1:149
	v_add_u32_e32 v6, 0x800, v30
	ds_read2_b32 v[6:7], v6 offset0:28 offset1:163
	;; [unrolled: 2-line block ×3, first 2 shown]
	s_waitcnt lgkmcnt(2)
	global_store_dword v[4:5], v2, off offset:1080
	global_store_dword v[4:5], v3, off offset:1620
	s_waitcnt lgkmcnt(1)
	global_store_dword v[4:5], v6, off offset:2160
	global_store_dword v[4:5], v7, off offset:2700
	;; [unrolled: 3-line block ×3, first 2 shown]
	v_add_u32_e32 v2, 0x1000, v30
	ds_read2_b32 v[2:3], v2 offset0:56 offset1:191
	s_movk_i32 s0, 0x1000
	v_add_co_u32_e32 v6, vcc, s0, v4
	v_addc_co_u32_e32 v7, vcc, 0, v5, vcc
	s_waitcnt lgkmcnt(0)
	global_store_dword v[6:7], v2, off offset:224
	global_store_dword v[6:7], v3, off offset:764
	v_add_u32_e32 v2, 0x1400, v30
	ds_read2_b32 v[2:3], v2 offset0:70 offset1:205
	v_add_u32_e32 v9, 0x1800, v30
	ds_read2_b32 v[9:10], v9 offset0:84 offset1:219
	;; [unrolled: 2-line block ×3, first 2 shown]
	s_waitcnt lgkmcnt(2)
	global_store_dword v[6:7], v2, off offset:1304
	global_store_dword v[6:7], v3, off offset:1844
	s_waitcnt lgkmcnt(1)
	global_store_dword v[6:7], v9, off offset:2384
	global_store_dword v[6:7], v10, off offset:2924
	;; [unrolled: 3-line block ×3, first 2 shown]
	v_add_u32_e32 v2, 0x2000, v30
	ds_read2_b32 v[2:3], v2 offset0:112 offset1:247
	s_movk_i32 s0, 0x2000
	v_add_co_u32_e32 v6, vcc, s0, v4
	v_addc_co_u32_e32 v7, vcc, 0, v5, vcc
	s_waitcnt lgkmcnt(0)
	global_store_dword v[6:7], v2, off offset:448
	global_store_dword v[6:7], v3, off offset:988
	v_add_u32_e32 v2, 0x2500, v30
	ds_read2_b32 v[2:3], v2 offset0:62 offset1:197
	v_add_u32_e32 v9, 0x2a00, v30
	ds_read2_b32 v[9:10], v9 offset0:12 offset1:147
	v_add_u32_e32 v11, 0x2e00, v30
	ds_read2_b32 v[11:12], v11 offset0:26 offset1:161
	s_movk_i32 s0, 0x3000
	s_waitcnt lgkmcnt(2)
	global_store_dword v[6:7], v2, off offset:1528
	global_store_dword v[6:7], v3, off offset:2068
	s_waitcnt lgkmcnt(1)
	global_store_dword v[6:7], v9, off offset:2608
	global_store_dword v[6:7], v10, off offset:3148
	s_waitcnt lgkmcnt(0)
	global_store_dword v[6:7], v11, off offset:3688
	v_add_co_u32_e32 v2, vcc, s0, v4
	v_add_u32_e32 v4, 0x3200, v30
	v_addc_co_u32_e32 v3, vcc, 0, v5, vcc
	ds_read2_b32 v[4:5], v4 offset0:40 offset1:175
	v_add_u32_e32 v6, 0x3600, v30
	ds_read2_b32 v[6:7], v6 offset0:54 offset1:189
	v_add_u32_e32 v9, 0x3a00, v30
	s_movk_i32 s0, 0x86
	ds_read2_b32 v[9:10], v9 offset0:68 offset1:203
	v_cmp_eq_u32_e32 vcc, s0, v8
	global_store_dword v[2:3], v12, off offset:132
	s_waitcnt lgkmcnt(2)
	global_store_dword v[2:3], v4, off offset:672
	global_store_dword v[2:3], v5, off offset:1212
	s_waitcnt lgkmcnt(1)
	global_store_dword v[2:3], v6, off offset:1752
	;; [unrolled: 3-line block ×3, first 2 shown]
	global_store_dword v[2:3], v10, off offset:3372
	s_and_b64 exec, exec, vcc
	s_cbranch_execz .LBB0_20
; %bb.19:
	v_mov_b32_e32 v2, 0
	ds_read_b32 v3, v2 offset:16200
	v_add_co_u32_e32 v1, vcc, 0x3000, v1
	v_addc_co_u32_e32 v2, vcc, 0, v0, vcc
	s_waitcnt lgkmcnt(0)
	global_store_dword v[1:2], v3, off offset:3912
.LBB0_20:
	s_endpgm
	.section	.rodata,"a",@progbits
	.p2align	6, 0x0
	.amdhsa_kernel fft_rtc_fwd_len4050_factors_10_5_3_3_3_3_wgs_135_tpt_135_halfLds_half_ip_CI_unitstride_sbrr_R2C_dirReg
		.amdhsa_group_segment_fixed_size 0
		.amdhsa_private_segment_fixed_size 0
		.amdhsa_kernarg_size 88
		.amdhsa_user_sgpr_count 6
		.amdhsa_user_sgpr_private_segment_buffer 1
		.amdhsa_user_sgpr_dispatch_ptr 0
		.amdhsa_user_sgpr_queue_ptr 0
		.amdhsa_user_sgpr_kernarg_segment_ptr 1
		.amdhsa_user_sgpr_dispatch_id 0
		.amdhsa_user_sgpr_flat_scratch_init 0
		.amdhsa_user_sgpr_private_segment_size 0
		.amdhsa_uses_dynamic_stack 0
		.amdhsa_system_sgpr_private_segment_wavefront_offset 0
		.amdhsa_system_sgpr_workgroup_id_x 1
		.amdhsa_system_sgpr_workgroup_id_y 0
		.amdhsa_system_sgpr_workgroup_id_z 0
		.amdhsa_system_sgpr_workgroup_info 0
		.amdhsa_system_vgpr_workitem_id 0
		.amdhsa_next_free_vgpr 116
		.amdhsa_next_free_sgpr 22
		.amdhsa_reserve_vcc 1
		.amdhsa_reserve_flat_scratch 0
		.amdhsa_float_round_mode_32 0
		.amdhsa_float_round_mode_16_64 0
		.amdhsa_float_denorm_mode_32 3
		.amdhsa_float_denorm_mode_16_64 3
		.amdhsa_dx10_clamp 1
		.amdhsa_ieee_mode 1
		.amdhsa_fp16_overflow 0
		.amdhsa_exception_fp_ieee_invalid_op 0
		.amdhsa_exception_fp_denorm_src 0
		.amdhsa_exception_fp_ieee_div_zero 0
		.amdhsa_exception_fp_ieee_overflow 0
		.amdhsa_exception_fp_ieee_underflow 0
		.amdhsa_exception_fp_ieee_inexact 0
		.amdhsa_exception_int_div_zero 0
	.end_amdhsa_kernel
	.text
.Lfunc_end0:
	.size	fft_rtc_fwd_len4050_factors_10_5_3_3_3_3_wgs_135_tpt_135_halfLds_half_ip_CI_unitstride_sbrr_R2C_dirReg, .Lfunc_end0-fft_rtc_fwd_len4050_factors_10_5_3_3_3_3_wgs_135_tpt_135_halfLds_half_ip_CI_unitstride_sbrr_R2C_dirReg
                                        ; -- End function
	.section	.AMDGPU.csdata,"",@progbits
; Kernel info:
; codeLenInByte = 24532
; NumSgprs: 26
; NumVgprs: 116
; ScratchSize: 0
; MemoryBound: 0
; FloatMode: 240
; IeeeMode: 1
; LDSByteSize: 0 bytes/workgroup (compile time only)
; SGPRBlocks: 3
; VGPRBlocks: 28
; NumSGPRsForWavesPerEU: 26
; NumVGPRsForWavesPerEU: 116
; Occupancy: 2
; WaveLimiterHint : 1
; COMPUTE_PGM_RSRC2:SCRATCH_EN: 0
; COMPUTE_PGM_RSRC2:USER_SGPR: 6
; COMPUTE_PGM_RSRC2:TRAP_HANDLER: 0
; COMPUTE_PGM_RSRC2:TGID_X_EN: 1
; COMPUTE_PGM_RSRC2:TGID_Y_EN: 0
; COMPUTE_PGM_RSRC2:TGID_Z_EN: 0
; COMPUTE_PGM_RSRC2:TIDIG_COMP_CNT: 0
	.type	__hip_cuid_945b8e7681e86ad1,@object ; @__hip_cuid_945b8e7681e86ad1
	.section	.bss,"aw",@nobits
	.globl	__hip_cuid_945b8e7681e86ad1
__hip_cuid_945b8e7681e86ad1:
	.byte	0                               ; 0x0
	.size	__hip_cuid_945b8e7681e86ad1, 1

	.ident	"AMD clang version 19.0.0git (https://github.com/RadeonOpenCompute/llvm-project roc-6.4.0 25133 c7fe45cf4b819c5991fe208aaa96edf142730f1d)"
	.section	".note.GNU-stack","",@progbits
	.addrsig
	.addrsig_sym __hip_cuid_945b8e7681e86ad1
	.amdgpu_metadata
---
amdhsa.kernels:
  - .args:
      - .actual_access:  read_only
        .address_space:  global
        .offset:         0
        .size:           8
        .value_kind:     global_buffer
      - .offset:         8
        .size:           8
        .value_kind:     by_value
      - .actual_access:  read_only
        .address_space:  global
        .offset:         16
        .size:           8
        .value_kind:     global_buffer
      - .actual_access:  read_only
        .address_space:  global
        .offset:         24
        .size:           8
        .value_kind:     global_buffer
      - .offset:         32
        .size:           8
        .value_kind:     by_value
      - .actual_access:  read_only
        .address_space:  global
        .offset:         40
        .size:           8
        .value_kind:     global_buffer
      - .actual_access:  read_only
        .address_space:  global
        .offset:         48
        .size:           8
        .value_kind:     global_buffer
      - .offset:         56
        .size:           4
        .value_kind:     by_value
      - .actual_access:  read_only
        .address_space:  global
        .offset:         64
        .size:           8
        .value_kind:     global_buffer
      - .actual_access:  read_only
        .address_space:  global
        .offset:         72
        .size:           8
        .value_kind:     global_buffer
      - .address_space:  global
        .offset:         80
        .size:           8
        .value_kind:     global_buffer
    .group_segment_fixed_size: 0
    .kernarg_segment_align: 8
    .kernarg_segment_size: 88
    .language:       OpenCL C
    .language_version:
      - 2
      - 0
    .max_flat_workgroup_size: 135
    .name:           fft_rtc_fwd_len4050_factors_10_5_3_3_3_3_wgs_135_tpt_135_halfLds_half_ip_CI_unitstride_sbrr_R2C_dirReg
    .private_segment_fixed_size: 0
    .sgpr_count:     26
    .sgpr_spill_count: 0
    .symbol:         fft_rtc_fwd_len4050_factors_10_5_3_3_3_3_wgs_135_tpt_135_halfLds_half_ip_CI_unitstride_sbrr_R2C_dirReg.kd
    .uniform_work_group_size: 1
    .uses_dynamic_stack: false
    .vgpr_count:     116
    .vgpr_spill_count: 0
    .wavefront_size: 64
amdhsa.target:   amdgcn-amd-amdhsa--gfx906
amdhsa.version:
  - 1
  - 2
...

	.end_amdgpu_metadata
